;; amdgpu-corpus repo=ROCm/rocFFT kind=compiled arch=gfx950 opt=O3
	.text
	.amdgcn_target "amdgcn-amd-amdhsa--gfx950"
	.amdhsa_code_object_version 6
	.protected	bluestein_single_fwd_len2250_dim1_dp_op_CI_CI ; -- Begin function bluestein_single_fwd_len2250_dim1_dp_op_CI_CI
	.globl	bluestein_single_fwd_len2250_dim1_dp_op_CI_CI
	.p2align	8
	.type	bluestein_single_fwd_len2250_dim1_dp_op_CI_CI,@function
bluestein_single_fwd_len2250_dim1_dp_op_CI_CI: ; @bluestein_single_fwd_len2250_dim1_dp_op_CI_CI
; %bb.0:
	s_load_dwordx4 s[4:7], s[0:1], 0x28
	v_mul_u32_u24_e32 v1, 0x2d9, v0
	v_mov_b32_e32 v183, 0
	v_add_u32_sdwa v6, s2, v1 dst_sel:DWORD dst_unused:UNUSED_PAD src0_sel:DWORD src1_sel:WORD_1
	v_mov_b32_e32 v7, v183
	s_waitcnt lgkmcnt(0)
	v_cmp_gt_u64_e32 vcc, s[4:5], v[6:7]
	s_and_saveexec_b64 s[2:3], vcc
	s_cbranch_execz .LBB0_31
; %bb.1:
	s_load_dwordx2 s[14:15], s[0:1], 0x0
	s_load_dwordx4 s[16:19], s[0:1], 0x18
	s_load_dwordx2 s[12:13], s[0:1], 0x38
	s_movk_i32 s2, 0x5a
	v_mul_lo_u16_sdwa v1, v1, s2 dst_sel:DWORD dst_unused:UNUSED_PAD src0_sel:WORD_1 src1_sel:DWORD
	v_sub_u16_e32 v182, v0, v1
	s_waitcnt lgkmcnt(0)
	s_load_dwordx4 s[8:11], s[16:17], 0x0
	v_accvgpr_write_b32 a54, v6
	v_mov_b32_e32 v2, s6
	v_mov_b32_e32 v3, s7
	v_lshlrev_b32_e32 v254, 4, v182
	s_waitcnt lgkmcnt(0)
	v_mad_u64_u32 v[0:1], s[2:3], s10, v6, 0
	v_mov_b32_e32 v4, v1
	v_mad_u64_u32 v[4:5], s[2:3], s11, v6, v[4:5]
	v_mov_b32_e32 v1, v4
	;; [unrolled: 2-line block ×4, first 2 shown]
	v_lshl_add_u64 v[0:1], v[0:1], 4, v[2:3]
	v_lshl_add_u64 v[0:1], v[4:5], 4, v[0:1]
	global_load_dwordx4 v[78:81], v254, s[14:15]
	global_load_dwordx4 v[4:7], v[0:1], off
	s_mul_i32 s2, s9, 0xe1
	s_mul_hi_u32 s3, s8, 0xe1
	s_add_i32 s3, s3, s2
	s_mul_i32 s2, s8, 0xe1
	s_lshl_b64 s[2:3], s[2:3], 4
	v_lshl_add_u64 v[8:9], v[0:1], 0, s[2:3]
	s_load_dwordx4 s[4:7], s[18:19], 0x0
	global_load_dwordx4 v[0:3], v[8:9], off
	global_load_dwordx4 v[82:85], v254, s[14:15] offset:3600
	v_mov_b32_e32 v255, v183
	v_lshl_add_u64 v[252:253], s[14:15], 0, v[254:255]
	s_movk_i32 s10, 0x1000
	v_add_co_u32_e32 v50, vcc, s10, v252
	v_lshl_add_u64 v[12:13], v[8:9], 0, s[2:3]
	s_nop 0
	v_addc_co_u32_e32 v51, vcc, 0, v253, vcc
	global_load_dwordx4 v[8:11], v[12:13], off
	global_load_dwordx4 v[90:93], v[50:51], off offset:3104
	s_movk_i32 s10, 0x2000
	v_add_co_u32_e32 v56, vcc, s10, v252
	v_lshl_add_u64 v[16:17], v[12:13], 0, s[2:3]
	s_nop 0
	v_addc_co_u32_e32 v57, vcc, 0, v253, vcc
	s_movk_i32 s10, 0x3000
	global_load_dwordx4 v[12:15], v[16:17], off
	global_load_dwordx4 v[94:97], v[56:57], off offset:2608
	v_add_co_u32_e32 v58, vcc, s10, v252
	v_lshl_add_u64 v[20:21], v[16:17], 0, s[2:3]
	s_nop 0
	v_addc_co_u32_e32 v59, vcc, 0, v253, vcc
	global_load_dwordx4 v[98:101], v[58:59], off offset:2112
	s_movk_i32 s10, 0x4000
	global_load_dwordx4 v[16:19], v[20:21], off
	v_add_co_u32_e32 v60, vcc, s10, v252
	v_lshl_add_u64 v[24:25], v[20:21], 0, s[2:3]
	s_nop 0
	v_addc_co_u32_e32 v61, vcc, 0, v253, vcc
	s_movk_i32 s10, 0x5000
	global_load_dwordx4 v[20:23], v[24:25], off
	global_load_dwordx4 v[102:105], v[60:61], off offset:1616
	v_add_co_u32_e32 v48, vcc, s10, v252
	v_lshl_add_u64 v[28:29], v[24:25], 0, s[2:3]
	s_nop 0
	v_addc_co_u32_e32 v49, vcc, 0, v253, vcc
	s_movk_i32 s10, 0x6000
	global_load_dwordx4 v[24:27], v[28:29], off
	global_load_dwordx4 v[106:109], v[48:49], off offset:1120
	;; [unrolled: 7-line block ×3, first 2 shown]
	v_add_co_u32_e32 v54, vcc, s10, v252
	v_lshl_add_u64 v[36:37], v[32:33], 0, s[2:3]
	s_nop 0
	v_addc_co_u32_e32 v55, vcc, 0, v253, vcc
	global_load_dwordx4 v[114:117], v[54:55], off offset:128
	global_load_dwordx4 v[32:35], v[36:37], off
	s_mul_hi_u32 s10, s8, 0xfffff871
	v_lshl_add_u64 v[40:41], v[36:37], 0, s[2:3]
	s_mulk_i32 s9, 0xf871
	s_sub_i32 s10, s10, s8
	global_load_dwordx4 v[36:39], v[40:41], off
	global_load_dwordx4 v[118:121], v[54:55], off offset:3728
	s_add_i32 s9, s10, s9
	s_mulk_i32 s8, 0xf871
	v_lshl_add_u64 v[44:45], s[8:9], 4, v[40:41]
	global_load_dwordx4 v[40:43], v[44:45], off
	global_load_dwordx4 v[122:125], v254, s[14:15] offset:1440
	v_lshl_add_u64 v[66:67], v[44:45], 0, s[2:3]
	s_mov_b32 s10, 0x8000
	global_load_dwordx4 v[44:47], v[66:67], off
	global_load_dwordx4 v[126:129], v[50:51], off offset:944
	v_add_co_u32_e32 v62, vcc, s10, v252
	s_waitcnt vmcnt(22)
	v_mul_f64 v[64:65], v[6:7], v[80:81]
	v_addc_co_u32_e32 v63, vcc, 0, v253, vcc
	v_lshl_add_u64 v[66:67], v[66:67], 0, s[2:3]
	v_fmac_f64_e32 v[64:65], v[4:5], v[78:79]
	v_mul_f64 v[4:5], v[4:5], v[80:81]
	global_load_dwordx4 v[130:133], v[62:63], off offset:1072
	global_load_dwordx4 v[68:71], v[66:67], off
	global_load_dwordx4 v[158:161], v[56:57], off offset:448
	v_lshl_add_u64 v[76:77], v[66:67], 0, s[2:3]
	v_fma_f64 v[66:67], v[6:7], v[78:79], -v[4:5]
	global_load_dwordx4 v[72:75], v[76:77], off
	global_load_dwordx4 v[154:157], v[56:57], off offset:4048
	ds_write_b128 v254, v[64:67]
	v_lshl_add_u64 v[66:67], v[76:77], 0, s[2:3]
	global_load_dwordx4 v[4:7], v[66:67], off
	global_load_dwordx4 v[150:153], v[58:59], off offset:3552
	v_accvgpr_write_b32 a2, v78
	v_accvgpr_write_b32 a3, v79
	;; [unrolled: 1-line block ×4, first 2 shown]
	s_waitcnt vmcnt(27)
	v_mul_f64 v[64:65], v[2:3], v[84:85]
	v_lshl_add_u64 v[80:81], v[66:67], 0, s[2:3]
	v_fmac_f64_e32 v[64:65], v[0:1], v[82:83]
	global_load_dwordx4 v[76:79], v[80:81], off
	global_load_dwordx4 v[146:149], v[60:61], off offset:3056
	v_mul_f64 v[0:1], v[0:1], v[84:85]
	v_accvgpr_write_b32 a6, v82
	v_fma_f64 v[66:67], v[2:3], v[82:83], -v[0:1]
	v_lshl_add_u64 v[2:3], v[80:81], 0, s[2:3]
	v_accvgpr_write_b32 a7, v83
	v_accvgpr_write_b32 a8, v84
	;; [unrolled: 1-line block ×3, first 2 shown]
	global_load_dwordx4 v[80:83], v[2:3], off
	global_load_dwordx4 v[142:145], v[48:49], off offset:2560
	ds_write_b128 v254, v[64:67] offset:3600
	v_lshl_add_u64 v[2:3], v[2:3], 0, s[2:3]
	s_waitcnt vmcnt(29)
	v_mul_f64 v[0:1], v[10:11], v[92:93]
	global_load_dwordx4 v[64:67], v[2:3], off
	global_load_dwordx4 v[138:141], v[52:53], off offset:2064
	v_fmac_f64_e32 v[0:1], v[8:9], v[90:91]
	v_mul_f64 v[8:9], v[8:9], v[92:93]
	v_lshl_add_u64 v[88:89], v[2:3], 0, s[2:3]
	global_load_dwordx4 v[84:87], v[88:89], off
	global_load_dwordx4 v[134:137], v[54:55], off offset:1568
	v_fma_f64 v[2:3], v[10:11], v[90:91], -v[8:9]
	v_accvgpr_write_b32 a10, v90
	ds_write_b128 v254, v[0:3] offset:7200
	v_lshl_add_u64 v[0:1], v[88:89], 0, s[2:3]
	v_accvgpr_write_b32 a11, v91
	v_accvgpr_write_b32 a12, v92
	;; [unrolled: 1-line block ×3, first 2 shown]
	global_load_dwordx4 v[88:91], v[0:1], off
	s_waitcnt vmcnt(32)
	v_mul_f64 v[8:9], v[14:15], v[96:97]
	v_mul_f64 v[2:3], v[12:13], v[96:97]
	v_fmac_f64_e32 v[8:9], v[12:13], v[94:95]
	v_fma_f64 v[10:11], v[14:15], v[94:95], -v[2:3]
	ds_write_b128 v254, v[8:11] offset:10800
	s_waitcnt vmcnt(30)
	v_mul_f64 v[8:9], v[18:19], v[100:101]
	v_mul_f64 v[2:3], v[16:17], v[100:101]
	v_fmac_f64_e32 v[8:9], v[16:17], v[98:99]
	v_fma_f64 v[10:11], v[18:19], v[98:99], -v[2:3]
	ds_write_b128 v254, v[8:11] offset:14400
	s_waitcnt vmcnt(28)
	v_mul_f64 v[8:9], v[22:23], v[104:105]
	v_mul_f64 v[2:3], v[20:21], v[104:105]
	v_fmac_f64_e32 v[8:9], v[20:21], v[102:103]
	v_accvgpr_write_b32 a23, v105           ;  Reload Reuse
	v_fma_f64 v[10:11], v[22:23], v[102:103], -v[2:3]
	ds_write_b128 v254, v[8:11] offset:18000
	s_waitcnt vmcnt(26)
	v_mul_f64 v[8:9], v[26:27], v[108:109]
	v_mul_f64 v[2:3], v[24:25], v[108:109]
	v_fmac_f64_e32 v[8:9], v[24:25], v[106:107]
	v_fma_f64 v[10:11], v[26:27], v[106:107], -v[2:3]
	ds_write_b128 v254, v[8:11] offset:21600
	s_waitcnt vmcnt(24)
	v_mul_f64 v[8:9], v[30:31], v[112:113]
	v_mul_f64 v[2:3], v[28:29], v[112:113]
	v_fmac_f64_e32 v[8:9], v[28:29], v[110:111]
	;; [unrolled: 6-line block ×7, first 2 shown]
	v_fma_f64 v[10:11], v[70:71], v[158:159], -v[2:3]
	s_waitcnt vmcnt(11)
	v_mul_f64 v[2:3], v[72:73], v[156:157]
	ds_write_b128 v254, v[8:11] offset:8640
	v_fma_f64 v[10:11], v[74:75], v[154:155], -v[2:3]
	s_waitcnt vmcnt(9)
	v_mul_f64 v[2:3], v[6:7], v[152:153]
	v_fmac_f64_e32 v[2:3], v[4:5], v[150:151]
	v_mul_f64 v[4:5], v[4:5], v[152:153]
	v_fma_f64 v[4:5], v[6:7], v[150:151], -v[4:5]
	ds_write_b128 v254, v[2:5] offset:15840
	s_waitcnt vmcnt(7)
	v_mul_f64 v[2:3], v[78:79], v[148:149]
	v_mul_f64 v[4:5], v[76:77], v[148:149]
	v_fmac_f64_e32 v[2:3], v[76:77], v[146:147]
	v_fma_f64 v[4:5], v[78:79], v[146:147], -v[4:5]
	ds_write_b128 v254, v[2:5] offset:19440
	s_waitcnt vmcnt(5)
	v_mul_f64 v[2:3], v[82:83], v[144:145]
	v_mul_f64 v[4:5], v[80:81], v[144:145]
	v_fmac_f64_e32 v[2:3], v[80:81], v[142:143]
	;; [unrolled: 6-line block ×4, first 2 shown]
	v_fma_f64 v[4:5], v[86:87], v[134:135], -v[4:5]
	v_accvgpr_write_b32 a14, v94
	v_accvgpr_write_b32 a18, v98
	v_mul_f64 v[8:9], v[74:75], v[156:157]
	ds_write_b128 v254, v[2:5] offset:30240
	s_waitcnt vmcnt(0)
	v_mul_f64 v[2:3], v[90:91], v[132:133]
	v_mul_f64 v[4:5], v[88:89], v[132:133]
	v_accvgpr_write_b32 a15, v95
	v_accvgpr_write_b32 a16, v96
	;; [unrolled: 1-line block ×6, first 2 shown]
	v_accvgpr_write_b32 a24, v104           ;  Reload Reuse
	v_accvgpr_write_b32 a25, v103           ;  Reload Reuse
	v_fmac_f64_e32 v[8:9], v[72:73], v[154:155]
	v_fmac_f64_e32 v[2:3], v[88:89], v[130:131]
	v_fma_f64 v[4:5], v[90:91], v[130:131], -v[4:5]
	v_cmp_gt_u16_e32 vcc, 45, v182
	scratch_store_dword off, v102, off offset:288 ; 4-byte Folded Spill
	scratch_store_dwordx4 off, v[106:109], off offset:252 ; 16-byte Folded Spill
	scratch_store_dwordx4 off, v[110:113], off offset:236 ; 16-byte Folded Spill
	;; [unrolled: 1-line block ×8, first 2 shown]
	ds_write_b128 v254, v[8:11] offset:12240
	scratch_store_dwordx4 off, v[150:153], off offset:124 ; 16-byte Folded Spill
	scratch_store_dwordx4 off, v[146:149], off offset:108 ; 16-byte Folded Spill
	;; [unrolled: 1-line block ×6, first 2 shown]
	ds_write_b128 v254, v[2:5] offset:33840
	s_and_saveexec_b64 s[10:11], vcc
	s_cbranch_execz .LBB0_3
; %bb.2:
	v_lshl_add_u64 v[12:13], s[8:9], 4, v[0:1]
	v_lshl_add_u64 v[16:17], v[12:13], 0, s[2:3]
	global_load_dwordx4 v[0:3], v[12:13], off
	global_load_dwordx4 v[4:7], v[252:253], off offset:2880
	global_load_dwordx4 v[8:11], v[50:51], off offset:2384
	v_lshl_add_u64 v[28:29], v[16:17], 0, s[2:3]
	global_load_dwordx4 v[12:15], v[16:17], off
	v_lshl_add_u64 v[32:33], v[28:29], 0, s[2:3]
	global_load_dwordx4 v[16:19], v[28:29], off
	global_load_dwordx4 v[20:23], v[56:57], off offset:1888
                                        ; kill: killed $vgpr56 killed $vgpr57
	global_load_dwordx4 v[24:27], v[58:59], off offset:1392
	s_nop 0
	global_load_dwordx4 v[28:31], v[32:33], off
	v_lshl_add_u64 v[44:45], v[32:33], 0, s[2:3]
	v_lshl_add_u64 v[50:51], v[44:45], 0, s[2:3]
	global_load_dwordx4 v[32:35], v[44:45], off
	global_load_dwordx4 v[36:39], v[60:61], off offset:896
	global_load_dwordx4 v[40:43], v[48:49], off offset:400
	v_lshl_add_u64 v[60:61], v[50:51], 0, s[2:3]
	global_load_dwordx4 v[44:47], v[50:51], off
	global_load_dwordx4 v[56:59], v[60:61], off
	s_nop 0
	global_load_dwordx4 v[48:51], v[48:49], off offset:4000
	s_nop 0
	global_load_dwordx4 v[64:67], v[52:53], off offset:3504
	v_lshl_add_u64 v[52:53], v[60:61], 0, s[2:3]
	global_load_dwordx4 v[68:71], v[52:53], off
	v_lshl_add_u64 v[76:77], v[52:53], 0, s[2:3]
	global_load_dwordx4 v[72:75], v[76:77], off
	s_nop 0
	global_load_dwordx4 v[52:55], v[54:55], off offset:3008
	s_nop 0
	global_load_dwordx4 v[60:63], v[62:63], off offset:2512
	v_lshl_add_u64 v[76:77], v[76:77], 0, s[2:3]
	global_load_dwordx4 v[76:79], v[76:77], off
	s_waitcnt vmcnt(18)
	v_mul_f64 v[80:81], v[2:3], v[6:7]
	v_mul_f64 v[6:7], v[0:1], v[6:7]
	v_fmac_f64_e32 v[80:81], v[0:1], v[4:5]
	v_fma_f64 v[82:83], v[2:3], v[4:5], -v[6:7]
	s_waitcnt vmcnt(16)
	v_mul_f64 v[0:1], v[14:15], v[10:11]
	v_mul_f64 v[2:3], v[12:13], v[10:11]
	v_fmac_f64_e32 v[0:1], v[12:13], v[8:9]
	v_fma_f64 v[2:3], v[14:15], v[8:9], -v[2:3]
	s_waitcnt vmcnt(14)
	v_mul_f64 v[4:5], v[18:19], v[22:23]
	v_mul_f64 v[6:7], v[16:17], v[22:23]
	ds_write_b128 v254, v[0:3] offset:6480
	s_waitcnt vmcnt(12)
	v_mul_f64 v[0:1], v[30:31], v[26:27]
	v_mul_f64 v[2:3], v[28:29], v[26:27]
	v_fmac_f64_e32 v[4:5], v[16:17], v[20:21]
	v_fma_f64 v[6:7], v[18:19], v[20:21], -v[6:7]
	v_fmac_f64_e32 v[0:1], v[28:29], v[24:25]
	v_fma_f64 v[2:3], v[30:31], v[24:25], -v[2:3]
	ds_write_b128 v254, v[4:7] offset:10080
	s_waitcnt vmcnt(10)
	v_mul_f64 v[4:5], v[34:35], v[38:39]
	v_mul_f64 v[6:7], v[32:33], v[38:39]
	ds_write_b128 v254, v[0:3] offset:13680
	s_waitcnt vmcnt(8)
	v_mul_f64 v[0:1], v[46:47], v[42:43]
	v_mul_f64 v[2:3], v[44:45], v[42:43]
	v_fmac_f64_e32 v[4:5], v[32:33], v[36:37]
	v_fma_f64 v[6:7], v[34:35], v[36:37], -v[6:7]
	v_fmac_f64_e32 v[0:1], v[44:45], v[40:41]
	v_fma_f64 v[2:3], v[46:47], v[40:41], -v[2:3]
	ds_write_b128 v254, v[4:7] offset:17280
	;; [unrolled: 12-line block ×4, first 2 shown]
	ds_write_b128 v254, v[4:7] offset:31680
	ds_write_b128 v254, v[0:3] offset:35280
.LBB0_3:
	s_or_b64 exec, exec, s[10:11]
	s_waitcnt lgkmcnt(0)
	s_barrier
	ds_read_b128 v[84:87], v254 offset:3600
	ds_read_b128 v[32:35], v254 offset:1440
	;; [unrolled: 1-line block ×18, first 2 shown]
	ds_read_b128 v[80:83], v254
	ds_read_b128 v[60:63], v254 offset:33840
                                        ; implicit-def: $vgpr4_vgpr5
                                        ; implicit-def: $vgpr8_vgpr9
                                        ; implicit-def: $vgpr20_vgpr21
                                        ; implicit-def: $vgpr0_vgpr1
                                        ; implicit-def: $vgpr28_vgpr29
                                        ; implicit-def: $vgpr12_vgpr13
                                        ; implicit-def: $vgpr36_vgpr37
                                        ; implicit-def: $vgpr16_vgpr17
                                        ; implicit-def: $vgpr44_vgpr45
                                        ; implicit-def: $vgpr24_vgpr25
	s_and_saveexec_b64 s[2:3], vcc
	s_cbranch_execz .LBB0_5
; %bb.4:
	ds_read_b128 v[8:11], v254 offset:6480
	ds_read_b128 v[20:23], v254 offset:10080
	;; [unrolled: 1-line block ×10, first 2 shown]
.LBB0_5:
	s_or_b64 exec, exec, s[2:3]
	s_load_dwordx2 s[8:9], s[0:1], 0x8
	s_mov_b64 s[0:1], 0x5a
	v_lshl_add_u64 v[134:135], v[182:183], 0, s[0:1]
	s_mov_b64 s[0:1], 0xb4
	v_lshl_add_u64 v[132:133], v[182:183], 0, s[0:1]
	s_waitcnt lgkmcnt(0)
	v_add_f64 v[122:123], v[108:109], v[112:113]
	s_mov_b32 s0, 0x134454ff
	v_fma_f64 v[122:123], -0.5, v[122:123], v[80:81]
	v_add_f64 v[124:125], v[106:107], -v[118:119]
	s_mov_b32 s1, 0x3fee6f0e
	s_mov_b32 s2, 0x4755a5e
	;; [unrolled: 1-line block ×4, first 2 shown]
	v_fma_f64 v[126:127], s[0:1], v[124:125], v[122:123]
	v_add_f64 v[128:129], v[110:111], -v[114:115]
	s_mov_b32 s3, 0x3fe2cf23
	v_add_f64 v[130:131], v[104:105], -v[108:109]
	v_add_f64 v[136:137], v[116:117], -v[112:113]
	s_mov_b32 s10, 0x372fe950
	v_fmac_f64_e32 v[122:123], s[16:17], v[124:125]
	s_mov_b32 s19, 0xbfe2cf23
	s_mov_b32 s18, s2
	v_fmac_f64_e32 v[126:127], s[2:3], v[128:129]
	v_add_f64 v[130:131], v[130:131], v[136:137]
	s_mov_b32 s11, 0x3fd3c6ef
	v_fmac_f64_e32 v[122:123], s[18:19], v[128:129]
	v_fmac_f64_e32 v[126:127], s[10:11], v[130:131]
	;; [unrolled: 1-line block ×3, first 2 shown]
	v_add_f64 v[130:131], v[104:105], v[116:117]
	v_add_f64 v[120:121], v[80:81], v[104:105]
	v_fmac_f64_e32 v[80:81], -0.5, v[130:131]
	v_fma_f64 v[130:131], s[16:17], v[128:129], v[80:81]
	v_fmac_f64_e32 v[80:81], s[0:1], v[128:129]
	v_fmac_f64_e32 v[130:131], s[2:3], v[124:125]
	;; [unrolled: 1-line block ×3, first 2 shown]
	v_add_f64 v[124:125], v[82:83], v[106:107]
	v_add_f64 v[136:137], v[108:109], -v[104:105]
	v_add_f64 v[138:139], v[112:113], -v[116:117]
	v_add_f64 v[124:125], v[124:125], v[110:111]
	v_add_f64 v[136:137], v[136:137], v[138:139]
	;; [unrolled: 1-line block ×4, first 2 shown]
	v_fmac_f64_e32 v[130:131], s[10:11], v[136:137]
	v_fmac_f64_e32 v[80:81], s[10:11], v[136:137]
	v_add_f64 v[136:137], v[124:125], v[118:119]
	v_add_f64 v[124:125], v[110:111], v[114:115]
	v_add_f64 v[120:121], v[120:121], v[112:113]
	v_fma_f64 v[138:139], -0.5, v[124:125], v[82:83]
	v_add_f64 v[104:105], v[104:105], -v[116:117]
	v_add_f64 v[120:121], v[120:121], v[116:117]
	v_fma_f64 v[140:141], s[16:17], v[104:105], v[138:139]
	v_add_f64 v[108:109], v[108:109], -v[112:113]
	v_add_f64 v[112:113], v[106:107], -v[110:111]
	;; [unrolled: 1-line block ×3, first 2 shown]
	v_fmac_f64_e32 v[138:139], s[0:1], v[104:105]
	v_fmac_f64_e32 v[140:141], s[18:19], v[108:109]
	v_add_f64 v[112:113], v[112:113], v[116:117]
	v_fmac_f64_e32 v[138:139], s[2:3], v[108:109]
	v_fmac_f64_e32 v[140:141], s[10:11], v[112:113]
	;; [unrolled: 1-line block ×3, first 2 shown]
	v_add_f64 v[112:113], v[106:107], v[118:119]
	v_fmac_f64_e32 v[82:83], -0.5, v[112:113]
	v_fma_f64 v[142:143], s[0:1], v[108:109], v[82:83]
	v_add_f64 v[106:107], v[110:111], -v[106:107]
	v_add_f64 v[110:111], v[114:115], -v[118:119]
	v_fmac_f64_e32 v[82:83], s[16:17], v[108:109]
	v_fmac_f64_e32 v[142:143], s[18:19], v[104:105]
	v_add_f64 v[106:107], v[106:107], v[110:111]
	v_fmac_f64_e32 v[82:83], s[2:3], v[104:105]
	v_fmac_f64_e32 v[142:143], s[10:11], v[106:107]
	;; [unrolled: 1-line block ×3, first 2 shown]
	v_add_f64 v[106:107], v[92:93], v[96:97]
	v_fma_f64 v[106:107], -0.5, v[106:107], v[84:85]
	v_add_f64 v[108:109], v[90:91], -v[102:103]
	v_fma_f64 v[110:111], s[0:1], v[108:109], v[106:107]
	v_add_f64 v[112:113], v[94:95], -v[98:99]
	v_add_f64 v[114:115], v[88:89], -v[92:93]
	;; [unrolled: 1-line block ×3, first 2 shown]
	v_fmac_f64_e32 v[106:107], s[16:17], v[108:109]
	v_fmac_f64_e32 v[110:111], s[2:3], v[112:113]
	v_add_f64 v[114:115], v[114:115], v[116:117]
	v_fmac_f64_e32 v[106:107], s[18:19], v[112:113]
	v_fmac_f64_e32 v[110:111], s[10:11], v[114:115]
	;; [unrolled: 1-line block ×3, first 2 shown]
	v_add_f64 v[114:115], v[88:89], v[100:101]
	v_add_f64 v[104:105], v[84:85], v[88:89]
	v_fmac_f64_e32 v[84:85], -0.5, v[114:115]
	v_fma_f64 v[114:115], s[16:17], v[112:113], v[84:85]
	v_fmac_f64_e32 v[84:85], s[0:1], v[112:113]
	v_fmac_f64_e32 v[114:115], s[2:3], v[108:109]
	;; [unrolled: 1-line block ×3, first 2 shown]
	v_add_f64 v[108:109], v[86:87], v[90:91]
	v_add_f64 v[108:109], v[108:109], v[94:95]
	v_add_f64 v[116:117], v[92:93], -v[88:89]
	v_add_f64 v[118:119], v[96:97], -v[100:101]
	v_add_f64 v[108:109], v[108:109], v[98:99]
	v_add_f64 v[104:105], v[104:105], v[92:93]
	;; [unrolled: 1-line block ×6, first 2 shown]
	v_fmac_f64_e32 v[114:115], s[10:11], v[116:117]
	v_fmac_f64_e32 v[84:85], s[10:11], v[116:117]
	v_fma_f64 v[116:117], -0.5, v[108:109], v[86:87]
	v_add_f64 v[88:89], v[88:89], -v[100:101]
	v_add_f64 v[104:105], v[104:105], v[100:101]
	v_fma_f64 v[124:125], s[16:17], v[88:89], v[116:117]
	v_add_f64 v[92:93], v[92:93], -v[96:97]
	v_add_f64 v[96:97], v[90:91], -v[94:95]
	;; [unrolled: 1-line block ×3, first 2 shown]
	v_fmac_f64_e32 v[116:117], s[0:1], v[88:89]
	v_fmac_f64_e32 v[124:125], s[18:19], v[92:93]
	v_add_f64 v[96:97], v[96:97], v[100:101]
	v_fmac_f64_e32 v[116:117], s[2:3], v[92:93]
	v_fmac_f64_e32 v[124:125], s[10:11], v[96:97]
	;; [unrolled: 1-line block ×3, first 2 shown]
	v_add_f64 v[96:97], v[90:91], v[102:103]
	v_fmac_f64_e32 v[86:87], -0.5, v[96:97]
	v_fma_f64 v[128:129], s[0:1], v[92:93], v[86:87]
	v_add_f64 v[90:91], v[94:95], -v[90:91]
	v_add_f64 v[94:95], v[98:99], -v[102:103]
	v_fmac_f64_e32 v[86:87], s[16:17], v[92:93]
	v_fmac_f64_e32 v[128:129], s[18:19], v[88:89]
	v_add_f64 v[90:91], v[90:91], v[94:95]
	v_fmac_f64_e32 v[86:87], s[2:3], v[88:89]
	v_fmac_f64_e32 v[128:129], s[10:11], v[90:91]
	;; [unrolled: 1-line block ×3, first 2 shown]
	s_mov_b32 s20, 0x9b97f4a8
	v_mul_f64 v[90:91], v[84:85], s[10:11]
	s_mov_b32 s21, 0x3fe9e377
	v_mul_f64 v[94:95], v[128:129], s[0:1]
	v_fma_f64 v[144:145], v[86:87], s[0:1], -v[90:91]
	v_mul_f64 v[86:87], v[86:87], s[10:11]
	v_mul_f64 v[92:93], v[110:111], s[20:21]
	v_fmac_f64_e32 v[94:95], s[10:11], v[114:115]
	v_mul_f64 v[90:91], v[106:107], s[20:21]
	v_mul_f64 v[150:151], v[114:115], s[16:17]
	v_fma_f64 v[86:87], v[84:85], s[16:17], -v[86:87]
	v_add_f64 v[88:89], v[120:121], v[104:105]
	v_fmac_f64_e32 v[92:93], s[2:3], v[124:125]
	v_add_f64 v[112:113], v[130:131], v[94:95]
	v_fma_f64 v[146:147], v[116:117], s[2:3], -v[90:91]
	v_add_f64 v[90:91], v[136:137], v[118:119]
	v_mul_f64 v[148:149], v[110:111], s[18:19]
	v_fmac_f64_e32 v[150:151], s[10:11], v[128:129]
	v_add_f64 v[110:111], v[82:83], v[86:87]
	v_mul_f64 v[84:85], v[116:117], s[20:21]
	v_add_f64 v[128:129], v[120:121], -v[104:105]
	v_add_f64 v[120:121], v[130:131], -v[94:95]
	;; [unrolled: 1-line block ×4, first 2 shown]
	v_add_f64 v[82:83], v[68:69], v[72:73]
	v_add_f64 v[96:97], v[126:127], v[92:93]
	v_fmac_f64_e32 v[148:149], s[20:21], v[124:125]
	v_fma_f64 v[106:107], v[106:107], s[18:19], -v[84:85]
	v_add_f64 v[124:125], v[126:127], -v[92:93]
	v_fma_f64 v[82:83], -0.5, v[82:83], v[32:33]
	v_add_f64 v[92:93], v[66:67], -v[78:79]
	v_add_f64 v[102:103], v[138:139], v[106:107]
	v_add_f64 v[86:87], v[138:139], -v[106:107]
	v_fma_f64 v[94:95], s[0:1], v[92:93], v[82:83]
	v_add_f64 v[104:105], v[70:71], -v[74:75]
	v_add_f64 v[106:107], v[64:65], -v[68:69]
	;; [unrolled: 1-line block ×3, first 2 shown]
	v_fmac_f64_e32 v[82:83], s[16:17], v[92:93]
	v_fmac_f64_e32 v[94:95], s[2:3], v[104:105]
	v_add_f64 v[106:107], v[106:107], v[136:137]
	v_fmac_f64_e32 v[82:83], s[18:19], v[104:105]
	v_fmac_f64_e32 v[94:95], s[10:11], v[106:107]
	;; [unrolled: 1-line block ×3, first 2 shown]
	v_add_f64 v[106:107], v[64:65], v[76:77]
	v_add_f64 v[108:109], v[80:81], v[144:145]
	v_add_f64 v[116:117], v[80:81], -v[144:145]
	v_add_f64 v[80:81], v[32:33], v[64:65]
	v_fmac_f64_e32 v[32:33], -0.5, v[106:107]
	v_add_f64 v[80:81], v[80:81], v[68:69]
	v_fma_f64 v[106:107], s[16:17], v[104:105], v[32:33]
	v_add_f64 v[136:137], v[68:69], -v[64:65]
	v_add_f64 v[138:139], v[72:73], -v[76:77]
	v_fmac_f64_e32 v[32:33], s[0:1], v[104:105]
	v_add_f64 v[104:105], v[70:71], v[74:75]
	v_add_f64 v[80:81], v[80:81], v[72:73]
	v_fmac_f64_e32 v[106:107], s[2:3], v[92:93]
	v_add_f64 v[136:137], v[136:137], v[138:139]
	v_fmac_f64_e32 v[32:33], s[18:19], v[92:93]
	v_fma_f64 v[104:105], -0.5, v[104:105], v[34:35]
	v_add_f64 v[64:65], v[64:65], -v[76:77]
	v_add_f64 v[80:81], v[80:81], v[76:77]
	v_fmac_f64_e32 v[106:107], s[10:11], v[136:137]
	v_fmac_f64_e32 v[32:33], s[10:11], v[136:137]
	v_fma_f64 v[136:137], s[16:17], v[64:65], v[104:105]
	v_add_f64 v[68:69], v[68:69], -v[72:73]
	v_add_f64 v[72:73], v[66:67], -v[70:71]
	;; [unrolled: 1-line block ×3, first 2 shown]
	v_fmac_f64_e32 v[104:105], s[0:1], v[64:65]
	v_fmac_f64_e32 v[136:137], s[18:19], v[68:69]
	v_add_f64 v[72:73], v[72:73], v[76:77]
	v_fmac_f64_e32 v[104:105], s[2:3], v[68:69]
	v_fmac_f64_e32 v[136:137], s[10:11], v[72:73]
	;; [unrolled: 1-line block ×3, first 2 shown]
	v_add_f64 v[72:73], v[66:67], v[78:79]
	v_add_f64 v[92:93], v[34:35], v[66:67]
	v_fmac_f64_e32 v[34:35], -0.5, v[72:73]
	v_fma_f64 v[138:139], s[0:1], v[68:69], v[34:35]
	v_fmac_f64_e32 v[34:35], s[16:17], v[68:69]
	v_fmac_f64_e32 v[138:139], s[18:19], v[64:65]
	;; [unrolled: 1-line block ×3, first 2 shown]
	v_add_f64 v[64:65], v[40:41], v[48:49]
	v_add_f64 v[64:65], v[64:65], v[52:53]
	;; [unrolled: 1-line block ×4, first 2 shown]
	v_add_f64 v[66:67], v[70:71], -v[66:67]
	v_add_f64 v[70:71], v[74:75], -v[78:79]
	v_add_f64 v[68:69], v[64:65], v[60:61]
	v_add_f64 v[64:65], v[52:53], v[56:57]
	;; [unrolled: 1-line block ×3, first 2 shown]
	v_fma_f64 v[70:71], -0.5, v[64:65], v[40:41]
	v_add_f64 v[64:65], v[50:51], -v[62:63]
	v_add_f64 v[92:93], v[92:93], v[74:75]
	v_fmac_f64_e32 v[138:139], s[10:11], v[66:67]
	v_fmac_f64_e32 v[34:35], s[10:11], v[66:67]
	v_fma_f64 v[66:67], s[0:1], v[64:65], v[70:71]
	v_add_f64 v[72:73], v[54:55], -v[58:59]
	v_add_f64 v[74:75], v[48:49], -v[52:53]
	;; [unrolled: 1-line block ×3, first 2 shown]
	v_fmac_f64_e32 v[70:71], s[16:17], v[64:65]
	v_fmac_f64_e32 v[66:67], s[2:3], v[72:73]
	v_add_f64 v[74:75], v[74:75], v[76:77]
	v_fmac_f64_e32 v[70:71], s[18:19], v[72:73]
	v_fmac_f64_e32 v[66:67], s[10:11], v[74:75]
	;; [unrolled: 1-line block ×3, first 2 shown]
	v_add_f64 v[74:75], v[48:49], v[60:61]
	v_fmac_f64_e32 v[40:41], -0.5, v[74:75]
	v_fma_f64 v[74:75], s[16:17], v[72:73], v[40:41]
	v_fmac_f64_e32 v[40:41], s[0:1], v[72:73]
	v_fmac_f64_e32 v[74:75], s[2:3], v[64:65]
	;; [unrolled: 1-line block ×3, first 2 shown]
	v_add_f64 v[64:65], v[42:43], v[50:51]
	v_add_f64 v[64:65], v[64:65], v[54:55]
	;; [unrolled: 1-line block ×3, first 2 shown]
	v_add_f64 v[76:77], v[52:53], -v[48:49]
	v_add_f64 v[78:79], v[56:57], -v[60:61]
	v_add_f64 v[64:65], v[64:65], v[58:59]
	v_add_f64 v[76:77], v[76:77], v[78:79]
	v_add_f64 v[78:79], v[64:65], v[62:63]
	v_add_f64 v[64:65], v[54:55], v[58:59]
	v_fma_f64 v[72:73], -0.5, v[64:65], v[42:43]
	v_add_f64 v[48:49], v[48:49], -v[60:61]
	v_fmac_f64_e32 v[74:75], s[10:11], v[76:77]
	v_fmac_f64_e32 v[40:41], s[10:11], v[76:77]
	v_fma_f64 v[76:77], s[16:17], v[48:49], v[72:73]
	v_add_f64 v[52:53], v[52:53], -v[56:57]
	v_add_f64 v[56:57], v[50:51], -v[54:55]
	;; [unrolled: 1-line block ×3, first 2 shown]
	v_fmac_f64_e32 v[72:73], s[0:1], v[48:49]
	v_fmac_f64_e32 v[76:77], s[18:19], v[52:53]
	v_add_f64 v[56:57], v[56:57], v[60:61]
	v_fmac_f64_e32 v[72:73], s[2:3], v[52:53]
	v_fmac_f64_e32 v[76:77], s[10:11], v[56:57]
	;; [unrolled: 1-line block ×3, first 2 shown]
	v_add_f64 v[56:57], v[50:51], v[62:63]
	v_fmac_f64_e32 v[42:43], -0.5, v[56:57]
	v_add_f64 v[100:101], v[122:123], v[146:147]
	v_add_f64 v[98:99], v[140:141], v[148:149]
	;; [unrolled: 1-line block ×3, first 2 shown]
	v_add_f64 v[84:85], v[122:123], -v[146:147]
	v_add_f64 v[126:127], v[140:141], -v[148:149]
	;; [unrolled: 1-line block ×3, first 2 shown]
	v_fma_f64 v[140:141], s[0:1], v[52:53], v[42:43]
	v_add_f64 v[50:51], v[54:55], -v[50:51]
	v_add_f64 v[54:55], v[58:59], -v[62:63]
	v_fmac_f64_e32 v[42:43], s[16:17], v[52:53]
	v_mul_f64 v[142:143], v[66:67], s[20:21]
	v_mul_f64 v[150:151], v[66:67], s[18:19]
	v_fmac_f64_e32 v[140:141], s[18:19], v[48:49]
	v_add_f64 v[50:51], v[50:51], v[54:55]
	v_fmac_f64_e32 v[42:43], s[2:3], v[48:49]
	v_add_f64 v[48:49], v[80:81], v[68:69]
	v_fmac_f64_e32 v[142:143], s[2:3], v[76:77]
	v_fmac_f64_e32 v[150:151], s[20:21], v[76:77]
	v_add_f64 v[76:77], v[80:81], -v[68:69]
	v_add_f64 v[80:81], v[4:5], v[20:21]
	v_fmac_f64_e32 v[140:141], s[10:11], v[50:51]
	v_fmac_f64_e32 v[42:43], s[10:11], v[50:51]
	v_mul_f64 v[50:51], v[40:41], s[10:11]
	v_add_f64 v[80:81], v[80:81], v[28:29]
	v_mul_f64 v[144:145], v[140:141], s[0:1]
	v_fma_f64 v[146:147], v[42:43], s[0:1], -v[50:51]
	v_mul_f64 v[50:51], v[70:71], s[20:21]
	v_mul_f64 v[42:43], v[42:43], s[10:11]
	v_add_f64 v[80:81], v[80:81], v[36:37]
	v_fmac_f64_e32 v[144:145], s[10:11], v[74:75]
	v_fma_f64 v[148:149], v[72:73], s[2:3], -v[50:51]
	v_add_f64 v[54:55], v[136:137], v[150:151]
	v_mul_f64 v[152:153], v[74:75], s[16:17]
	v_fma_f64 v[42:43], v[40:41], s[16:17], -v[42:43]
	v_mul_f64 v[40:41], v[72:73], s[20:21]
	v_add_f64 v[74:75], v[136:137], -v[150:151]
	v_add_f64 v[136:137], v[80:81], v[44:45]
	v_add_f64 v[80:81], v[28:29], v[36:37]
	;; [unrolled: 1-line block ×4, first 2 shown]
	v_fmac_f64_e32 v[152:153], s[10:11], v[140:141]
	v_fma_f64 v[140:141], v[70:71], s[18:19], -v[40:41]
	v_add_f64 v[40:41], v[32:33], -v[146:147]
	v_add_f64 v[32:33], v[82:83], -v[148:149]
	v_fma_f64 v[82:83], -0.5, v[80:81], v[4:5]
	v_add_f64 v[80:81], v[22:23], -v[46:47]
	v_add_f64 v[52:53], v[94:95], v[142:143]
	v_add_f64 v[50:51], v[92:93], v[78:79]
	;; [unrolled: 1-line block ×5, first 2 shown]
	v_add_f64 v[72:73], v[94:95], -v[142:143]
	v_add_f64 v[78:79], v[92:93], -v[78:79]
	;; [unrolled: 1-line block ×5, first 2 shown]
	v_fma_f64 v[138:139], s[0:1], v[80:81], v[82:83]
	v_add_f64 v[92:93], v[30:31], -v[38:39]
	v_add_f64 v[94:95], v[20:21], -v[28:29]
	;; [unrolled: 1-line block ×3, first 2 shown]
	v_fmac_f64_e32 v[82:83], s[16:17], v[80:81]
	v_fmac_f64_e32 v[138:139], s[2:3], v[92:93]
	v_add_f64 v[94:95], v[94:95], v[104:105]
	v_fmac_f64_e32 v[82:83], s[18:19], v[92:93]
	v_fmac_f64_e32 v[138:139], s[10:11], v[94:95]
	;; [unrolled: 1-line block ×3, first 2 shown]
	v_add_f64 v[94:95], v[20:21], v[44:45]
	v_fmac_f64_e32 v[4:5], -0.5, v[94:95]
	v_fma_f64 v[140:141], s[16:17], v[92:93], v[4:5]
	v_fmac_f64_e32 v[4:5], s[0:1], v[92:93]
	v_fmac_f64_e32 v[140:141], s[2:3], v[80:81]
	;; [unrolled: 1-line block ×3, first 2 shown]
	v_add_f64 v[80:81], v[6:7], v[22:23]
	v_add_f64 v[80:81], v[80:81], v[30:31]
	;; [unrolled: 1-line block ×6, first 2 shown]
	v_add_f64 v[68:69], v[106:107], -v[144:145]
	v_add_f64 v[104:105], v[36:37], -v[44:45]
	v_fma_f64 v[106:107], -0.5, v[80:81], v[6:7]
	v_add_f64 v[44:45], v[20:21], -v[44:45]
	v_add_f64 v[94:95], v[28:29], -v[20:21]
	v_fma_f64 v[20:21], s[16:17], v[44:45], v[106:107]
	v_add_f64 v[36:37], v[28:29], -v[36:37]
	v_add_f64 v[28:29], v[22:23], -v[30:31]
	;; [unrolled: 1-line block ×3, first 2 shown]
	v_fmac_f64_e32 v[106:107], s[0:1], v[44:45]
	v_fmac_f64_e32 v[20:21], s[18:19], v[36:37]
	v_add_f64 v[28:29], v[28:29], v[80:81]
	v_fmac_f64_e32 v[106:107], s[2:3], v[36:37]
	v_fmac_f64_e32 v[20:21], s[10:11], v[28:29]
	;; [unrolled: 1-line block ×3, first 2 shown]
	v_add_f64 v[28:29], v[22:23], v[46:47]
	v_fmac_f64_e32 v[6:7], -0.5, v[28:29]
	v_add_f64 v[22:23], v[30:31], -v[22:23]
	v_add_f64 v[30:31], v[38:39], -v[46:47]
	v_fma_f64 v[28:29], s[0:1], v[36:37], v[6:7]
	v_add_f64 v[22:23], v[22:23], v[30:31]
	v_fmac_f64_e32 v[6:7], s[16:17], v[36:37]
	v_add_f64 v[30:31], v[12:13], v[16:17]
	v_fmac_f64_e32 v[28:29], s[18:19], v[44:45]
	v_fmac_f64_e32 v[6:7], s[2:3], v[44:45]
	v_fma_f64 v[44:45], -0.5, v[30:31], v[8:9]
	v_add_f64 v[30:31], v[2:3], -v[26:27]
	v_fma_f64 v[36:37], s[0:1], v[30:31], v[44:45]
	v_add_f64 v[38:39], v[14:15], -v[18:19]
	v_add_f64 v[46:47], v[0:1], -v[12:13]
	;; [unrolled: 1-line block ×3, first 2 shown]
	v_fmac_f64_e32 v[44:45], s[16:17], v[30:31]
	v_fmac_f64_e32 v[36:37], s[2:3], v[38:39]
	v_add_f64 v[46:47], v[46:47], v[80:81]
	v_fmac_f64_e32 v[44:45], s[18:19], v[38:39]
	v_fmac_f64_e32 v[36:37], s[10:11], v[46:47]
	;; [unrolled: 1-line block ×3, first 2 shown]
	v_add_f64 v[46:47], v[0:1], v[24:25]
	v_fmac_f64_e32 v[28:29], s[10:11], v[22:23]
	v_fmac_f64_e32 v[6:7], s[10:11], v[22:23]
	v_add_f64 v[22:23], v[8:9], v[0:1]
	v_fmac_f64_e32 v[8:9], -0.5, v[46:47]
	v_fma_f64 v[46:47], s[16:17], v[38:39], v[8:9]
	v_add_f64 v[80:81], v[12:13], -v[0:1]
	v_add_f64 v[92:93], v[16:17], -v[24:25]
	v_fmac_f64_e32 v[8:9], s[0:1], v[38:39]
	v_add_f64 v[22:23], v[22:23], v[12:13]
	v_fmac_f64_e32 v[46:47], s[2:3], v[30:31]
	v_add_f64 v[80:81], v[80:81], v[92:93]
	;; [unrolled: 2-line block ×3, first 2 shown]
	v_add_f64 v[22:23], v[22:23], v[16:17]
	v_fmac_f64_e32 v[46:47], s[10:11], v[80:81]
	v_fmac_f64_e32 v[8:9], s[10:11], v[80:81]
	v_fma_f64 v[80:81], -0.5, v[38:39], v[10:11]
	v_add_f64 v[0:1], v[0:1], -v[24:25]
	v_add_f64 v[22:23], v[22:23], v[24:25]
	v_fma_f64 v[38:39], s[16:17], v[0:1], v[80:81]
	v_add_f64 v[12:13], v[12:13], -v[16:17]
	v_add_f64 v[16:17], v[2:3], -v[14:15]
	;; [unrolled: 1-line block ×3, first 2 shown]
	v_fmac_f64_e32 v[80:81], s[0:1], v[0:1]
	v_fmac_f64_e32 v[38:39], s[18:19], v[12:13]
	v_add_f64 v[16:17], v[16:17], v[24:25]
	v_fmac_f64_e32 v[80:81], s[2:3], v[12:13]
	v_fmac_f64_e32 v[38:39], s[10:11], v[16:17]
	;; [unrolled: 1-line block ×3, first 2 shown]
	v_add_f64 v[16:17], v[2:3], v[26:27]
	v_add_f64 v[30:31], v[10:11], v[2:3]
	v_fmac_f64_e32 v[10:11], -0.5, v[16:17]
	v_add_f64 v[30:31], v[30:31], v[14:15]
	v_fma_f64 v[92:93], s[0:1], v[12:13], v[10:11]
	v_add_f64 v[2:3], v[14:15], -v[2:3]
	v_add_f64 v[14:15], v[18:19], -v[26:27]
	v_fmac_f64_e32 v[10:11], s[16:17], v[12:13]
	v_add_f64 v[2:3], v[2:3], v[14:15]
	v_fmac_f64_e32 v[10:11], s[2:3], v[0:1]
	v_add_f64 v[30:31], v[30:31], v[18:19]
	v_fmac_f64_e32 v[92:93], s[18:19], v[0:1]
	v_fmac_f64_e32 v[10:11], s[10:11], v[2:3]
	v_add_f64 v[30:31], v[30:31], v[26:27]
	v_fmac_f64_e32 v[92:93], s[10:11], v[2:3]
	v_mul_f64 v[16:17], v[36:37], s[20:21]
	v_mul_f64 v[26:27], v[36:37], s[18:19]
	;; [unrolled: 1-line block ×3, first 2 shown]
	v_fmac_f64_e32 v[16:17], s[2:3], v[38:39]
	v_mul_f64 v[0:1], v[8:9], s[10:11]
	v_fmac_f64_e32 v[26:27], s[20:21], v[38:39]
	v_fma_f64 v[38:39], v[8:9], s[16:17], -v[2:3]
	v_mul_f64 v[2:3], v[80:81], s[20:21]
	v_fma_f64 v[24:25], v[10:11], s[0:1], -v[0:1]
	v_mul_f64 v[0:1], v[44:45], s[20:21]
	v_fma_f64 v[44:45], v[44:45], s[18:19], -v[2:3]
	v_add_f64 v[2:3], v[106:107], v[44:45]
	v_add_f64 v[106:107], v[106:107], -v[44:45]
	v_mul_lo_u16_e32 v44, 10, v182
	v_lshlrev_b32_e32 v44, 4, v44
	v_add_f64 v[94:95], v[94:95], v[104:105]
	v_mul_f64 v[18:19], v[92:93], s[0:1]
	v_mul_f64 v[36:37], v[46:47], s[16:17]
	s_barrier
	ds_write_b128 v44, v[88:91]
	ds_write_b128 v44, v[96:99] offset:16
	ds_write_b128 v44, v[112:115] offset:32
	;; [unrolled: 1-line block ×8, first 2 shown]
	v_mov_b32_e32 v255, v44
	ds_write_b128 v44, v[84:87] offset:144
	v_mul_u32_u24_e32 v44, 10, v134
	v_fmac_f64_e32 v[140:141], s[10:11], v[94:95]
	v_fmac_f64_e32 v[4:5], s[10:11], v[94:95]
	;; [unrolled: 1-line block ×3, first 2 shown]
	v_fma_f64 v[14:15], v[80:81], s[2:3], -v[0:1]
	v_fmac_f64_e32 v[36:37], s[10:11], v[92:93]
	v_lshlrev_b32_e32 v44, 4, v44
	v_add_f64 v[0:1], v[82:83], v[14:15]
	v_add_f64 v[8:9], v[136:137], -v[22:23]
	v_add_f64 v[12:13], v[138:139], -v[16:17]
	;; [unrolled: 1-line block ×9, first 2 shown]
	ds_write_b128 v44, v[48:51]
	ds_write_b128 v44, v[52:55] offset:16
	ds_write_b128 v44, v[64:67] offset:32
	;; [unrolled: 1-line block ×9, first 2 shown]
	v_mul_u32_u24_e32 v32, 10, v132
	scratch_store_dword off, v44, off offset:8 ; 4-byte Folded Spill
	scratch_store_dword off, v32, off offset:304 ; 4-byte Folded Spill
	s_and_saveexec_b64 s[0:1], vcc
	s_cbranch_execz .LBB0_7
; %bb.6:
	v_add_f64 v[20:21], v[20:21], v[26:27]
	v_add_f64 v[26:27], v[140:141], v[18:19]
	v_add_f64 v[18:19], v[138:139], v[16:17]
	v_mul_u32_u24_e32 v16, 10, v132
	v_add_f64 v[32:33], v[142:143], v[30:31]
	v_add_f64 v[30:31], v[136:137], v[22:23]
	v_lshlrev_b32_e32 v16, 4, v16
	v_add_f64 v[6:7], v[6:7], v[38:39]
	v_add_f64 v[28:29], v[28:29], v[36:37]
	;; [unrolled: 1-line block ×3, first 2 shown]
	ds_write_b128 v16, v[30:33]
	ds_write_b128 v16, v[18:21] offset:16
	ds_write_b128 v16, v[26:29] offset:32
	;; [unrolled: 1-line block ×9, first 2 shown]
.LBB0_7:
	s_or_b64 exec, exec, s[0:1]
	s_waitcnt lgkmcnt(0)
	s_barrier
	ds_read_b128 v[36:39], v254 offset:1440
	ds_read_b128 v[32:35], v254 offset:2880
	;; [unrolled: 1-line block ×22, first 2 shown]
	ds_read_b128 v[40:43], v254
	ds_read_b128 v[44:47], v254 offset:34080
	v_cmp_gt_u16_e64 s[0:1], 30, v182
	s_and_saveexec_b64 s[2:3], s[0:1]
	s_cbranch_execz .LBB0_9
; %bb.8:
	ds_read_b128 v[8:11], v254 offset:23520
	ds_read_b128 v[0:3], v254 offset:11520
	;; [unrolled: 1-line block ×3, first 2 shown]
.LBB0_9:
	s_or_b64 exec, exec, s[2:3]
	s_mov_b64 s[2:3], 0x10e
	v_lshl_add_u64 v[120:121], v[182:183], 0, s[2:3]
	s_mov_b64 s[2:3], 0x168
	v_lshl_add_u64 v[128:129], v[182:183], 0, s[2:3]
	s_mov_b64 s[2:3], 0x21c
	v_lshl_add_u64 v[122:123], v[182:183], 0, s[2:3]
	s_movk_i32 s2, 0xcd
	v_mul_lo_u16_sdwa v123, v182, s2 dst_sel:DWORD dst_unused:UNUSED_PAD src0_sel:BYTE_0 src1_sel:DWORD
	v_lshrrev_b16_e32 v124, 11, v123
	v_mul_lo_u16_e32 v123, 10, v124
	v_sub_u16_e32 v123, v182, v123
	v_and_b32_e32 v125, 0xff, v123
	v_lshlrev_b32_e32 v123, 5, v125
	global_load_dwordx4 v[150:153], v123, s[8:9] offset:16
	global_load_dwordx4 v[154:157], v123, s[8:9]
	v_mul_lo_u16_sdwa v123, v134, s2 dst_sel:DWORD dst_unused:UNUSED_PAD src0_sel:BYTE_0 src1_sel:DWORD
	v_lshrrev_b16_e32 v126, 11, v123
	v_mul_lo_u16_e32 v123, 10, v126
	v_sub_u16_e32 v123, v134, v123
	v_and_b32_e32 v127, 0xff, v123
	v_lshlrev_b32_e32 v123, 5, v127
	s_mov_b32 s2, 0xcccd
	global_load_dwordx4 v[158:161], v123, s[8:9] offset:16
	global_load_dwordx4 v[162:165], v123, s[8:9]
	v_mul_u32_u24_sdwa v123, v132, s2 dst_sel:DWORD dst_unused:UNUSED_PAD src0_sel:WORD_0 src1_sel:DWORD
	v_lshrrev_b32_e32 v130, 19, v123
	v_mul_lo_u16_e32 v123, 10, v130
	v_sub_u16_e32 v131, v132, v123
	v_lshlrev_b16_e32 v123, 1, v131
	v_lshlrev_b32_e32 v123, 4, v123
	global_load_dwordx4 v[166:169], v123, s[8:9] offset:16
	global_load_dwordx4 v[170:173], v123, s[8:9]
	v_mul_u32_u24_sdwa v123, v120, s2 dst_sel:DWORD dst_unused:UNUSED_PAD src0_sel:WORD_0 src1_sel:DWORD
	v_lshrrev_b32_e32 v136, 19, v123
	v_mul_lo_u16_e32 v123, 10, v136
	v_sub_u16_e32 v137, v120, v123
	v_lshlrev_b16_e32 v123, 1, v137
	v_lshlrev_b32_e32 v123, 4, v123
	;; [unrolled: 8-line block ×3, first 2 shown]
	global_load_dwordx4 v[186:189], v123, s[8:9] offset:16
	global_load_dwordx4 v[190:193], v123, s[8:9]
	v_add_u16_e32 v123, 0x1c2, v182
	v_mul_u32_u24_e32 v133, 0xcccd, v123
	v_lshrrev_b32_e32 v140, 19, v133
	v_mul_lo_u16_e32 v133, 10, v140
	v_sub_u16_e32 v141, v123, v133
	v_lshlrev_b16_e32 v133, 1, v141
	v_lshlrev_b32_e32 v133, 4, v133
	global_load_dwordx4 v[194:197], v133, s[8:9] offset:16
	global_load_dwordx4 v[198:201], v133, s[8:9]
	v_mul_u32_u24_sdwa v133, v122, s2 dst_sel:DWORD dst_unused:UNUSED_PAD src0_sel:WORD_0 src1_sel:DWORD
	v_lshrrev_b32_e32 v142, 19, v133
	v_mul_lo_u16_e32 v133, 10, v142
	v_sub_u16_e32 v143, v122, v133
	v_lshlrev_b16_e32 v133, 1, v143
	v_lshlrev_b32_e32 v133, 4, v133
	v_add_u16_e32 v184, 0x276, v182
	global_load_dwordx4 v[202:205], v133, s[8:9] offset:16
	global_load_dwordx4 v[206:209], v133, s[8:9]
	v_mul_u32_u24_e32 v133, 0xcccd, v184
	v_lshrrev_b32_e32 v144, 19, v133
	v_mul_lo_u16_e32 v133, 10, v144
	v_sub_u16_e32 v145, v184, v133
	v_lshlrev_b16_e32 v133, 1, v145
	v_lshlrev_b32_e32 v133, 4, v133
	global_load_dwordx4 v[210:213], v133, s[8:9] offset:16
	global_load_dwordx4 v[214:217], v133, s[8:9]
	v_add_u16_e32 v133, 0x2d0, v182
	v_mul_u32_u24_e32 v146, 0xcccd, v133
	v_lshrrev_b32_e32 v146, 19, v146
	scratch_store_dword off, v146, off      ; 4-byte Folded Spill
	v_mul_lo_u16_e32 v146, 10, v146
	v_sub_u16_e32 v146, v133, v146
	scratch_store_dword off, v146, off offset:4 ; 4-byte Folded Spill
	v_lshlrev_b16_e32 v146, 1, v146
	v_lshlrev_b32_e32 v146, 4, v146
	global_load_dwordx4 v[222:225], v146, s[8:9]
	global_load_dwordx4 v[218:221], v146, s[8:9] offset:16
	s_mov_b32 s2, 0xe8584caa
	s_mov_b32 s3, 0x3febb67a
	;; [unrolled: 1-line block ×4, first 2 shown]
	s_waitcnt lgkmcnt(0)
	s_barrier
	s_waitcnt vmcnt(19)
	v_accvgpr_write_b32 a86, v150
	s_waitcnt vmcnt(18)
	v_mul_f64 v[148:149], v[116:117], v[156:157]
	v_mul_f64 v[146:147], v[118:119], v[156:157]
	v_fmac_f64_e32 v[148:149], v[118:119], v[154:155]
	v_mul_f64 v[118:119], v[114:115], v[152:153]
	v_fma_f64 v[118:119], v[112:113], v[150:151], -v[118:119]
	v_mul_f64 v[112:113], v[112:113], v[152:153]
	v_fmac_f64_e32 v[112:113], v[114:115], v[150:151]
	v_fma_f64 v[116:117], v[116:117], v[154:155], -v[146:147]
	s_waitcnt vmcnt(16)
	v_mul_f64 v[114:115], v[110:111], v[164:165]
	v_fma_f64 v[114:115], v[108:109], v[162:163], -v[114:115]
	v_mul_f64 v[108:109], v[108:109], v[164:165]
	v_fmac_f64_e32 v[108:109], v[110:111], v[162:163]
	v_mul_f64 v[110:111], v[102:103], v[160:161]
	v_fma_f64 v[110:111], v[100:101], v[158:159], -v[110:111]
	v_mul_f64 v[100:101], v[100:101], v[160:161]
	v_fmac_f64_e32 v[100:101], v[102:103], v[158:159]
	s_waitcnt vmcnt(14)
	v_mul_f64 v[102:103], v[98:99], v[172:173]
	v_fma_f64 v[102:103], v[96:97], v[170:171], -v[102:103]
	v_mul_f64 v[96:97], v[96:97], v[172:173]
	v_fmac_f64_e32 v[96:97], v[98:99], v[170:171]
	v_mul_f64 v[98:99], v[86:87], v[168:169]
	v_fma_f64 v[98:99], v[84:85], v[166:167], -v[98:99]
	v_mul_f64 v[146:147], v[84:85], v[168:169]
	s_waitcnt vmcnt(12)
	v_mul_f64 v[84:85], v[90:91], v[180:181]
	v_accvgpr_write_b32 a90, v154
	v_accvgpr_write_b32 a87, v151
	;; [unrolled: 1-line block ×4, first 2 shown]
	v_fma_f64 v[150:151], v[88:89], v[178:179], -v[84:85]
	v_mul_f64 v[84:85], v[78:79], v[176:177]
	v_accvgpr_write_b32 a91, v155
	v_accvgpr_write_b32 a92, v156
	;; [unrolled: 1-line block ×4, first 2 shown]
	v_fma_f64 v[154:155], v[76:77], v[174:175], -v[84:85]
	v_mul_f64 v[156:157], v[76:77], v[176:177]
	s_waitcnt vmcnt(10)
	v_mul_f64 v[76:77], v[74:75], v[192:193]
	v_accvgpr_write_b32 a100, v162
	v_accvgpr_write_b32 a95, v159
	;; [unrolled: 1-line block ×4, first 2 shown]
	v_fma_f64 v[158:159], v[72:73], v[190:191], -v[76:77]
	v_mul_f64 v[160:161], v[72:73], v[192:193]
	v_mul_f64 v[72:73], v[66:67], v[188:189]
	v_accvgpr_write_b32 a101, v163
	v_accvgpr_write_b32 a102, v164
	;; [unrolled: 1-line block ×4, first 2 shown]
	v_fma_f64 v[162:163], v[64:65], v[186:187], -v[72:73]
	v_mul_f64 v[164:165], v[64:65], v[188:189]
	s_waitcnt vmcnt(8)
	v_mul_f64 v[64:65], v[70:71], v[200:201]
	v_accvgpr_write_b32 a108, v170
	v_accvgpr_write_b32 a105, v167
	v_accvgpr_write_b32 a106, v168
	v_accvgpr_write_b32 a107, v169
	v_fmac_f64_e32 v[146:147], v[86:87], v[166:167]
	v_fma_f64 v[166:167], v[68:69], v[198:199], -v[64:65]
	v_mul_f64 v[64:65], v[62:63], v[196:197]
	v_accvgpr_write_b32 a109, v171
	v_accvgpr_write_b32 a110, v172
	;; [unrolled: 1-line block ×4, first 2 shown]
	v_fma_f64 v[170:171], v[60:61], v[194:195], -v[64:65]
	v_mul_f64 v[172:173], v[60:61], v[196:197]
	s_waitcnt vmcnt(6)
	v_mul_f64 v[60:61], v[58:59], v[208:209]
	v_mul_f64 v[152:153], v[88:89], v[180:181]
	v_accvgpr_write_b32 a116, v178
	v_accvgpr_write_b32 a113, v175
	;; [unrolled: 1-line block ×4, first 2 shown]
	v_fmac_f64_e32 v[156:157], v[78:79], v[174:175]
	v_fma_f64 v[174:175], v[56:57], v[206:207], -v[60:61]
	v_mul_f64 v[176:177], v[56:57], v[208:209]
	v_mul_f64 v[56:57], v[50:51], v[204:205]
	v_accvgpr_write_b32 a117, v179
	v_accvgpr_write_b32 a118, v180
	v_accvgpr_write_b32 a119, v181
	v_fmac_f64_e32 v[152:153], v[90:91], v[178:179]
	v_fma_f64 v[178:179], v[48:49], v[202:203], -v[56:57]
	v_mul_f64 v[180:181], v[48:49], v[204:205]
	s_waitcnt vmcnt(4)
	v_mul_f64 v[48:49], v[54:55], v[216:217]
	v_fma_f64 v[60:61], v[52:53], v[214:215], -v[48:49]
	v_mul_f64 v[48:49], v[46:47], v[212:213]
	v_fmac_f64_e32 v[164:165], v[66:67], v[186:187]
	v_fma_f64 v[64:65], v[44:45], v[210:211], -v[48:49]
	v_mul_f64 v[66:67], v[44:45], v[212:213]
	s_waitcnt vmcnt(1)
	v_mul_f64 v[44:45], v[10:11], v[224:225]
	v_fmac_f64_e32 v[172:173], v[62:63], v[194:195]
	v_mul_f64 v[62:63], v[52:53], v[216:217]
	v_fma_f64 v[52:53], v[8:9], v[222:223], -v[44:45]
	v_mul_f64 v[56:57], v[8:9], v[224:225]
	s_waitcnt vmcnt(0)
	v_mul_f64 v[8:9], v[14:15], v[220:221]
	v_fmac_f64_e32 v[62:63], v[54:55], v[214:215]
	v_fma_f64 v[54:55], v[12:13], v[218:219], -v[8:9]
	v_add_f64 v[8:9], v[40:41], v[116:117]
	v_add_f64 v[44:45], v[8:9], v[118:119]
	;; [unrolled: 1-line block ×3, first 2 shown]
	v_fmac_f64_e32 v[40:41], -0.5, v[8:9]
	v_add_f64 v[8:9], v[148:149], -v[112:113]
	v_fma_f64 v[48:49], s[2:3], v[8:9], v[40:41]
	v_fmac_f64_e32 v[40:41], s[10:11], v[8:9]
	v_add_f64 v[8:9], v[42:43], v[148:149]
	v_fmac_f64_e32 v[66:67], v[46:47], v[210:211]
	v_add_f64 v[46:47], v[8:9], v[112:113]
	v_add_f64 v[8:9], v[148:149], v[112:113]
	v_fmac_f64_e32 v[42:43], -0.5, v[8:9]
	v_add_f64 v[8:9], v[116:117], -v[118:119]
	v_fmac_f64_e32 v[180:181], v[50:51], v[202:203]
	v_fma_f64 v[50:51], s[10:11], v[8:9], v[42:43]
	v_fmac_f64_e32 v[42:43], s[2:3], v[8:9]
	v_add_f64 v[8:9], v[36:37], v[114:115]
	v_mul_f64 v[168:169], v[68:69], v[200:201]
	v_add_f64 v[68:69], v[8:9], v[110:111]
	v_add_f64 v[8:9], v[114:115], v[110:111]
	v_fmac_f64_e32 v[36:37], -0.5, v[8:9]
	v_add_f64 v[8:9], v[108:109], -v[100:101]
	v_fma_f64 v[72:73], s[2:3], v[8:9], v[36:37]
	v_fmac_f64_e32 v[36:37], s[10:11], v[8:9]
	v_add_f64 v[8:9], v[38:39], v[108:109]
	v_fmac_f64_e32 v[168:169], v[70:71], v[198:199]
	v_add_f64 v[70:71], v[8:9], v[100:101]
	v_add_f64 v[8:9], v[108:109], v[100:101]
	v_fmac_f64_e32 v[38:39], -0.5, v[8:9]
	v_add_f64 v[8:9], v[114:115], -v[110:111]
	v_fmac_f64_e32 v[160:161], v[74:75], v[190:191]
	v_fma_f64 v[74:75], s[10:11], v[8:9], v[38:39]
	v_fmac_f64_e32 v[38:39], s[2:3], v[8:9]
	v_add_f64 v[8:9], v[32:33], v[102:103]
	v_add_f64 v[76:77], v[8:9], v[98:99]
	v_add_f64 v[8:9], v[102:103], v[98:99]
	v_fmac_f64_e32 v[32:33], -0.5, v[8:9]
	v_add_f64 v[8:9], v[96:97], -v[146:147]
	v_fma_f64 v[84:85], s[2:3], v[8:9], v[32:33]
	v_fmac_f64_e32 v[32:33], s[10:11], v[8:9]
	v_add_f64 v[8:9], v[34:35], v[96:97]
	v_add_f64 v[78:79], v[8:9], v[146:147]
	v_add_f64 v[8:9], v[96:97], v[146:147]
	v_fmac_f64_e32 v[34:35], -0.5, v[8:9]
	v_add_f64 v[8:9], v[102:103], -v[98:99]
	;; [unrolled: 7-line block ×8, first 2 shown]
	v_fma_f64 v[118:119], s[10:11], v[8:9], v[22:23]
	v_fmac_f64_e32 v[22:23], s[2:3], v[8:9]
	v_add_f64 v[8:9], v[16:17], v[174:175]
	v_fmac_f64_e32 v[176:177], v[58:59], v[206:207]
	v_add_f64 v[146:147], v[8:9], v[178:179]
	v_add_f64 v[8:9], v[174:175], v[178:179]
	v_fmac_f64_e32 v[16:17], -0.5, v[8:9]
	v_add_f64 v[8:9], v[176:177], -v[180:181]
	v_fma_f64 v[150:151], s[2:3], v[8:9], v[16:17]
	v_fmac_f64_e32 v[16:17], s[10:11], v[8:9]
	v_add_f64 v[8:9], v[18:19], v[176:177]
	v_add_f64 v[148:149], v[8:9], v[180:181]
	v_add_f64 v[8:9], v[176:177], v[180:181]
	v_fmac_f64_e32 v[18:19], -0.5, v[8:9]
	v_add_f64 v[8:9], v[174:175], -v[178:179]
	v_fma_f64 v[152:153], s[10:11], v[8:9], v[18:19]
	v_fmac_f64_e32 v[18:19], s[2:3], v[8:9]
	v_add_f64 v[8:9], v[4:5], v[60:61]
	;; [unrolled: 7-line block ×3, first 2 shown]
	v_add_f64 v[156:157], v[8:9], v[66:67]
	v_add_f64 v[8:9], v[62:63], v[66:67]
	v_mul_f64 v[58:59], v[12:13], v[220:221]
	v_fmac_f64_e32 v[6:7], -0.5, v[8:9]
	v_add_f64 v[8:9], v[60:61], -v[64:65]
	v_fmac_f64_e32 v[56:57], v[10:11], v[222:223]
	v_fmac_f64_e32 v[58:59], v[14:15], v[218:219]
	v_fma_f64 v[160:161], s[10:11], v[8:9], v[6:7]
	v_fmac_f64_e32 v[6:7], s[2:3], v[8:9]
	v_add_f64 v[8:9], v[52:53], v[54:55]
	v_fma_f64 v[12:13], -0.5, v[8:9], v[0:1]
	v_add_f64 v[10:11], v[56:57], -v[58:59]
	v_fma_f64 v[8:9], s[2:3], v[10:11], v[12:13]
	v_fmac_f64_e32 v[12:13], s[10:11], v[10:11]
	v_add_f64 v[10:11], v[56:57], v[58:59]
	v_fma_f64 v[14:15], -0.5, v[10:11], v[2:3]
	v_add_f64 v[60:61], v[52:53], -v[54:55]
	v_fma_f64 v[10:11], s[10:11], v[60:61], v[14:15]
	v_fmac_f64_e32 v[14:15], s[2:3], v[60:61]
	v_mul_u32_u24_e32 v60, 30, v124
	v_add_lshl_u32 v60, v60, v125, 4
	ds_write_b128 v60, v[44:47]
	ds_write_b128 v60, v[48:51] offset:160
	ds_write_b128 v60, v[40:43] offset:320
	v_mul_u32_u24_e32 v40, 30, v126
	v_add_lshl_u32 v40, v40, v127, 4
	scratch_store_dword off, v60, off offset:12 ; 4-byte Folded Spill
	ds_write_b128 v40, v[68:71]
	ds_write_b128 v40, v[72:75] offset:160
	ds_write_b128 v40, v[36:39] offset:320
	v_mad_legacy_u16 v36, v130, 30, v131
	v_lshlrev_b32_e32 v36, 4, v36
	scratch_store_dword off, v40, off offset:16 ; 4-byte Folded Spill
	ds_write_b128 v36, v[76:79]
	ds_write_b128 v36, v[84:87] offset:160
	ds_write_b128 v36, v[32:35] offset:320
	v_mad_legacy_u16 v32, v136, 30, v137
	v_lshlrev_b32_e32 v32, 4, v32
	scratch_store_dword off, v36, off offset:20 ; 4-byte Folded Spill
	ds_write_b128 v32, v[88:91]
	ds_write_b128 v32, v[96:99] offset:160
	ds_write_b128 v32, v[28:31] offset:320
	v_mad_legacy_u16 v28, v138, 30, v139
	v_lshlrev_b32_e32 v28, 4, v28
	scratch_store_dword off, v32, off offset:24 ; 4-byte Folded Spill
	ds_write_b128 v28, v[100:103]
	ds_write_b128 v28, v[108:111] offset:160
	ds_write_b128 v28, v[24:27] offset:320
	v_mad_legacy_u16 v24, v140, 30, v141
	v_lshlrev_b32_e32 v24, 4, v24
	scratch_store_dword off, v28, off offset:28 ; 4-byte Folded Spill
	ds_write_b128 v24, v[112:115]
	ds_write_b128 v24, v[116:119] offset:160
	ds_write_b128 v24, v[20:23] offset:320
	v_mad_legacy_u16 v20, v142, 30, v143
	v_lshlrev_b32_e32 v20, 4, v20
	v_accvgpr_write_b32 a124, v190
	v_accvgpr_write_b32 a120, v186
	v_accvgpr_write_b32 a132, v198
	v_accvgpr_write_b32 a128, v194
	v_accvgpr_write_b32 a140, v206
	v_accvgpr_write_b32 a136, v202
	v_accvgpr_write_b32 a148, v214
	v_accvgpr_write_b32 a144, v210
	v_accvgpr_write_b32 a156, v222
	v_accvgpr_write_b32 a152, v218
	scratch_store_dword off, v24, off offset:32 ; 4-byte Folded Spill
	ds_write_b128 v20, v[146:149]
	ds_write_b128 v20, v[150:153] offset:160
	ds_write_b128 v20, v[16:19] offset:320
	v_mad_legacy_u16 v16, v144, 30, v145
	v_accvgpr_write_b32 a125, v191
	v_accvgpr_write_b32 a126, v192
	;; [unrolled: 1-line block ×30, first 2 shown]
	v_lshlrev_b32_e32 v16, 4, v16
	scratch_store_dword off, v20, off offset:36 ; 4-byte Folded Spill
	ds_write_b128 v16, v[154:157]
	ds_write_b128 v16, v[158:161] offset:160
	scratch_store_dword off, v16, off offset:40 ; 4-byte Folded Spill
	ds_write_b128 v16, v[4:7] offset:320
	s_and_saveexec_b64 s[2:3], s[0:1]
	s_cbranch_execz .LBB0_11
; %bb.10:
	scratch_load_dword v4, off, off         ; 4-byte Folded Reload
	scratch_load_dword v5, off, off offset:4 ; 4-byte Folded Reload
	v_add_f64 v[2:3], v[2:3], v[56:57]
	v_add_f64 v[0:1], v[0:1], v[52:53]
	;; [unrolled: 1-line block ×4, first 2 shown]
	s_waitcnt vmcnt(0)
	v_mad_legacy_u16 v4, v4, 30, v5
	v_lshlrev_b32_e32 v4, 4, v4
	ds_write_b128 v4, v[0:3]
	ds_write_b128 v4, v[8:11] offset:160
	ds_write_b128 v4, v[12:15] offset:320
.LBB0_11:
	s_or_b64 exec, exec, s[2:3]
	s_movk_i32 s2, 0x89
	v_mul_lo_u16_sdwa v0, v182, s2 dst_sel:DWORD dst_unused:UNUSED_PAD src0_sel:BYTE_0 src1_sel:DWORD
	v_lshrrev_b16_e32 v144, 12, v0
	v_mul_lo_u16_e32 v0, 30, v144
	v_sub_u16_e32 v0, v182, v0
	v_mul_lo_u16_sdwa v1, v134, s2 dst_sel:DWORD dst_unused:UNUSED_PAD src0_sel:BYTE_0 src1_sel:DWORD
	v_and_b32_e32 v145, 0xff, v0
	v_lshrrev_b16_e32 v146, 12, v1
	v_lshlrev_b32_e32 v0, 6, v145
	v_mul_lo_u16_e32 v1, 30, v146
	s_waitcnt lgkmcnt(0)
	s_barrier
	global_load_dwordx4 v[84:87], v0, s[8:9] offset:320
	global_load_dwordx4 v[72:75], v0, s[8:9] offset:336
	;; [unrolled: 1-line block ×4, first 2 shown]
	v_sub_u16_e32 v0, v134, v1
	v_and_b32_e32 v147, 0xff, v0
	v_lshlrev_b32_e32 v0, 6, v147
	s_mov_b32 s2, 0x8889
	global_load_dwordx4 v[186:189], v0, s[8:9] offset:320
	global_load_dwordx4 v[140:143], v0, s[8:9] offset:336
	;; [unrolled: 1-line block ×4, first 2 shown]
	v_mul_u32_u24_sdwa v0, v132, s2 dst_sel:DWORD dst_unused:UNUSED_PAD src0_sel:WORD_0 src1_sel:DWORD
	v_lshrrev_b32_e32 v148, 20, v0
	v_mul_lo_u16_e32 v0, 30, v148
	v_sub_u16_e32 v149, v132, v0
	v_mov_b32_e32 v125, 0
	v_lshlrev_b16_e32 v124, 6, v149
	v_lshl_add_u64 v[16:17], s[8:9], 0, v[124:125]
	global_load_dwordx4 v[190:193], v[16:17], off offset:336
	global_load_dwordx4 v[198:201], v[16:17], off offset:320
	ds_read_b128 v[4:7], v254
	ds_read_b128 v[0:3], v254 offset:1440
	ds_read_b128 v[28:31], v254 offset:14400
	;; [unrolled: 1-line block ×5, first 2 shown]
	global_load_dwordx4 v[210:213], v[16:17], off offset:368
	global_load_dwordx4 v[218:221], v[16:17], off offset:352
	v_mul_u32_u24_sdwa v16, v120, s2 dst_sel:DWORD dst_unused:UNUSED_PAD src0_sel:WORD_0 src1_sel:DWORD
	v_lshrrev_b32_e32 v150, 20, v16
	v_mul_lo_u16_e32 v16, 30, v150
	v_sub_u16_e32 v151, v120, v16
	v_lshlrev_b16_e32 v124, 6, v151
	v_mul_u32_u24_sdwa v18, v128, s2 dst_sel:DWORD dst_unused:UNUSED_PAD src0_sel:WORD_0 src1_sel:DWORD
	v_lshl_add_u64 v[16:17], s[8:9], 0, v[124:125]
	v_lshrrev_b32_e32 v152, 20, v18
	global_load_dwordx4 v[206:209], v[16:17], off offset:336
	global_load_dwordx4 v[214:217], v[16:17], off offset:320
	ds_read_b128 v[44:47], v254 offset:8640
	ds_read_b128 v[48:51], v254 offset:10080
	;; [unrolled: 1-line block ×5, first 2 shown]
	global_load_dwordx4 v[226:229], v[16:17], off offset:368
	global_load_dwordx4 v[234:237], v[16:17], off offset:352
	v_mul_lo_u16_e32 v16, 30, v152
	v_sub_u16_e32 v153, v128, v16
	v_lshlrev_b16_e32 v124, 6, v153
	v_lshl_add_u64 v[56:57], s[8:9], 0, v[124:125]
	global_load_dwordx4 v[222:225], v[56:57], off offset:336
	global_load_dwordx4 v[230:233], v[56:57], off offset:320
	ds_read_b128 v[24:27], v254 offset:2880
	ds_read_b128 v[20:23], v254 offset:4320
	;; [unrolled: 1-line block ×6, first 2 shown]
	global_load_dwordx4 v[238:241], v[56:57], off offset:368
	global_load_dwordx4 v[242:245], v[56:57], off offset:352
	ds_read_b128 v[116:119], v254 offset:11520
	ds_read_b128 v[154:157], v254 offset:12960
	;; [unrolled: 1-line block ×8, first 2 shown]
	v_accvgpr_write_b32 a0, v182
	v_accvgpr_write_b32 a1, v183
	s_mov_b32 s10, 0x134454ff
	s_mov_b32 s11, 0x3fee6f0e
	;; [unrolled: 1-line block ×10, first 2 shown]
	s_waitcnt lgkmcnt(0)
	s_barrier
	s_waitcnt vmcnt(19)
	v_mul_f64 v[76:77], v[52:53], v[86:87]
	s_waitcnt vmcnt(18)
	v_mul_f64 v[66:67], v[30:31], v[74:75]
	v_mul_f64 v[174:175], v[28:29], v[74:75]
	v_fma_f64 v[176:177], v[28:29], v[72:73], -v[66:67]
	s_waitcnt vmcnt(17)
	v_mul_f64 v[28:29], v[58:59], v[70:71]
	v_fma_f64 v[178:179], v[56:57], v[68:69], -v[28:29]
	s_waitcnt vmcnt(16)
	;; [unrolled: 3-line block ×3, first 2 shown]
	v_mul_f64 v[28:29], v[46:47], v[188:189]
	v_mul_f64 v[64:65], v[54:55], v[86:87]
	v_fmac_f64_e32 v[76:77], v[54:55], v[84:85]
	v_mul_f64 v[56:57], v[56:57], v[70:71]
	v_fma_f64 v[54:55], v[44:45], v[186:187], -v[28:29]
	s_waitcnt vmcnt(14)
	v_mul_f64 v[28:29], v[34:35], v[142:143]
	v_accvgpr_write_b32 a175, v75
	v_fmac_f64_e32 v[56:57], v[58:59], v[68:69]
	v_fma_f64 v[58:59], v[32:33], v[140:141], -v[28:29]
	s_waitcnt vmcnt(12)
	v_mul_f64 v[28:29], v[62:63], v[204:205]
	v_fma_f64 v[52:53], v[52:53], v[84:85], -v[64:65]
	v_accvgpr_write_b32 a174, v74
	v_accvgpr_write_b32 a173, v73
	;; [unrolled: 1-line block ×3, first 2 shown]
	v_fmac_f64_e32 v[174:175], v[30:31], v[72:73]
	v_mul_f64 v[64:65], v[44:45], v[188:189]
	v_accvgpr_write_b32 a191, v189
	v_fma_f64 v[72:73], v[60:61], v[202:203], -v[28:29]
	v_mul_f64 v[28:29], v[42:43], v[196:197]
	v_accvgpr_write_b32 a190, v188
	v_accvgpr_write_b32 a189, v187
	;; [unrolled: 1-line block ×3, first 2 shown]
	v_fmac_f64_e32 v[64:65], v[46:47], v[186:187]
	v_fma_f64 v[186:187], v[40:41], v[194:195], -v[28:29]
	s_waitcnt vmcnt(10)
	v_mul_f64 v[28:29], v[50:51], v[200:201]
	v_fma_f64 v[74:75], v[48:49], v[198:199], -v[28:29]
	v_mul_f64 v[28:29], v[98:99], v[192:193]
	v_accvgpr_write_b32 a179, v87
	v_fma_f64 v[78:79], v[96:97], v[190:191], -v[28:29]
	s_waitcnt vmcnt(8)
	v_mul_f64 v[28:29], v[90:91], v[220:221]
	v_accvgpr_write_b32 a178, v86
	v_accvgpr_write_b32 a177, v85
	;; [unrolled: 1-line block ×3, first 2 shown]
	v_mul_f64 v[182:183], v[36:37], v[102:103]
	v_accvgpr_write_b32 a183, v103
	v_mul_f64 v[86:87], v[96:97], v[192:193]
	v_fma_f64 v[96:97], v[88:89], v[218:219], -v[28:29]
	v_mul_f64 v[28:29], v[110:111], v[212:213]
	v_accvgpr_write_b32 a182, v102
	v_accvgpr_write_b32 a181, v101
	;; [unrolled: 1-line block ×3, first 2 shown]
	v_fmac_f64_e32 v[182:183], v[38:39], v[100:101]
	v_fma_f64 v[100:101], v[108:109], v[210:211], -v[28:29]
	s_waitcnt vmcnt(6)
	v_mul_f64 v[28:29], v[118:119], v[216:217]
	v_fmac_f64_e32 v[86:87], v[98:99], v[190:191]
	v_fma_f64 v[98:99], v[116:117], v[214:215], -v[28:29]
	v_mul_f64 v[28:29], v[114:115], v[208:209]
	v_mul_f64 v[66:67], v[32:33], v[142:143]
	v_accvgpr_write_b32 a187, v143
	v_fma_f64 v[102:103], v[112:113], v[206:207], -v[28:29]
	s_waitcnt vmcnt(4)
	v_mul_f64 v[28:29], v[138:139], v[236:237]
	v_accvgpr_write_b32 a186, v142
	v_accvgpr_write_b32 a185, v141
	;; [unrolled: 1-line block ×3, first 2 shown]
	v_fmac_f64_e32 v[66:67], v[34:35], v[140:141]
	v_fma_f64 v[140:141], v[136:137], v[234:235], -v[28:29]
	v_mul_f64 v[28:29], v[168:169], v[228:229]
	v_accvgpr_write_b32 a171, v71
	v_fma_f64 v[142:143], v[166:167], v[226:227], -v[28:29]
	s_waitcnt vmcnt(2)
	v_mul_f64 v[28:29], v[156:157], v[232:233]
	v_accvgpr_write_b32 a170, v70
	v_accvgpr_write_b32 a169, v69
	;; [unrolled: 1-line block ×3, first 2 shown]
	v_mul_f64 v[68:69], v[60:61], v[204:205]
	v_mul_f64 v[60:61], v[116:117], v[216:217]
	v_fma_f64 v[116:117], v[154:155], v[230:231], -v[28:29]
	v_mul_f64 v[28:29], v[160:161], v[224:225]
	v_fmac_f64_e32 v[60:61], v[118:119], v[214:215]
	v_fma_f64 v[118:119], v[158:159], v[222:223], -v[28:29]
	s_waitcnt vmcnt(0)
	v_mul_f64 v[28:29], v[164:165], v[244:245]
	v_fma_f64 v[126:127], v[162:163], v[242:243], -v[28:29]
	v_mul_f64 v[28:29], v[172:173], v[240:241]
	v_fma_f64 v[130:131], v[170:171], v[238:239], -v[28:29]
	v_add_f64 v[28:29], v[4:5], v[52:53]
	v_add_f64 v[28:29], v[28:29], v[176:177]
	;; [unrolled: 1-line block ×5, first 2 shown]
	v_fma_f64 v[28:29], -0.5, v[28:29], v[4:5]
	v_add_f64 v[30:31], v[76:77], -v[182:183]
	v_mul_f64 v[70:71], v[40:41], v[196:197]
	v_fma_f64 v[36:37], s[10:11], v[30:31], v[28:29]
	v_add_f64 v[34:35], v[174:175], -v[56:57]
	v_add_f64 v[38:39], v[52:53], -v[176:177]
	;; [unrolled: 1-line block ×3, first 2 shown]
	v_fmac_f64_e32 v[28:29], s[18:19], v[30:31]
	v_fmac_f64_e32 v[36:37], s[2:3], v[34:35]
	v_add_f64 v[38:39], v[38:39], v[40:41]
	v_fmac_f64_e32 v[28:29], s[20:21], v[34:35]
	v_fmac_f64_e32 v[36:37], s[16:17], v[38:39]
	;; [unrolled: 1-line block ×3, first 2 shown]
	v_add_f64 v[38:39], v[52:53], v[180:181]
	v_fmac_f64_e32 v[4:5], -0.5, v[38:39]
	v_fma_f64 v[40:41], s[18:19], v[34:35], v[4:5]
	v_fmac_f64_e32 v[4:5], s[10:11], v[34:35]
	v_fmac_f64_e32 v[40:41], s[2:3], v[30:31]
	;; [unrolled: 1-line block ×3, first 2 shown]
	v_add_f64 v[30:31], v[6:7], v[76:77]
	v_add_f64 v[30:31], v[30:31], v[174:175]
	v_add_f64 v[30:31], v[30:31], v[56:57]
	v_fmac_f64_e32 v[70:71], v[42:43], v[194:195]
	v_add_f64 v[38:39], v[176:177], -v[52:53]
	v_add_f64 v[42:43], v[178:179], -v[180:181]
	v_add_f64 v[34:35], v[30:31], v[182:183]
	v_add_f64 v[30:31], v[174:175], v[56:57]
	;; [unrolled: 1-line block ×3, first 2 shown]
	v_fma_f64 v[30:31], -0.5, v[30:31], v[6:7]
	v_add_f64 v[44:45], v[52:53], -v[180:181]
	v_mul_f64 v[84:85], v[48:49], v[200:201]
	v_fmac_f64_e32 v[40:41], s[16:17], v[38:39]
	v_fmac_f64_e32 v[4:5], s[16:17], v[38:39]
	v_fma_f64 v[38:39], s[18:19], v[44:45], v[30:31]
	v_add_f64 v[46:47], v[176:177], -v[178:179]
	v_add_f64 v[42:43], v[76:77], -v[174:175]
	;; [unrolled: 1-line block ×3, first 2 shown]
	v_fmac_f64_e32 v[30:31], s[10:11], v[44:45]
	v_fmac_f64_e32 v[38:39], s[20:21], v[46:47]
	v_add_f64 v[42:43], v[42:43], v[48:49]
	v_fmac_f64_e32 v[30:31], s[2:3], v[46:47]
	v_fmac_f64_e32 v[38:39], s[16:17], v[42:43]
	;; [unrolled: 1-line block ×3, first 2 shown]
	v_add_f64 v[42:43], v[76:77], v[182:183]
	v_fmac_f64_e32 v[6:7], -0.5, v[42:43]
	v_fma_f64 v[42:43], s[10:11], v[46:47], v[6:7]
	v_fmac_f64_e32 v[6:7], s[18:19], v[46:47]
	v_fmac_f64_e32 v[42:43], s[20:21], v[44:45]
	v_fmac_f64_e32 v[6:7], s[2:3], v[44:45]
	v_add_f64 v[44:45], v[0:1], v[54:55]
	v_fmac_f64_e32 v[84:85], v[50:51], v[198:199]
	v_add_f64 v[48:49], v[174:175], -v[76:77]
	v_add_f64 v[50:51], v[56:57], -v[182:183]
	v_add_f64 v[44:45], v[44:45], v[58:59]
	v_add_f64 v[48:49], v[48:49], v[50:51]
	;; [unrolled: 1-line block ×3, first 2 shown]
	v_fmac_f64_e32 v[42:43], s[16:17], v[48:49]
	v_fmac_f64_e32 v[6:7], s[16:17], v[48:49]
	v_add_f64 v[48:49], v[44:45], v[186:187]
	v_add_f64 v[44:45], v[58:59], v[72:73]
	v_fmac_f64_e32 v[68:69], v[62:63], v[202:203]
	v_fma_f64 v[44:45], -0.5, v[44:45], v[0:1]
	v_add_f64 v[46:47], v[64:65], -v[70:71]
	v_fma_f64 v[52:53], s[10:11], v[46:47], v[44:45]
	v_add_f64 v[50:51], v[66:67], -v[68:69]
	v_add_f64 v[56:57], v[54:55], -v[58:59]
	;; [unrolled: 1-line block ×3, first 2 shown]
	v_fmac_f64_e32 v[44:45], s[18:19], v[46:47]
	v_fmac_f64_e32 v[52:53], s[2:3], v[50:51]
	v_add_f64 v[56:57], v[56:57], v[76:77]
	v_fmac_f64_e32 v[44:45], s[20:21], v[50:51]
	v_fmac_f64_e32 v[52:53], s[16:17], v[56:57]
	;; [unrolled: 1-line block ×3, first 2 shown]
	v_add_f64 v[56:57], v[54:55], v[186:187]
	v_fmac_f64_e32 v[0:1], -0.5, v[56:57]
	v_fma_f64 v[56:57], s[18:19], v[50:51], v[0:1]
	v_fmac_f64_e32 v[0:1], s[10:11], v[50:51]
	v_fmac_f64_e32 v[56:57], s[2:3], v[46:47]
	;; [unrolled: 1-line block ×3, first 2 shown]
	v_add_f64 v[46:47], v[2:3], v[64:65]
	v_mul_f64 v[88:89], v[88:89], v[220:221]
	v_add_f64 v[46:47], v[46:47], v[66:67]
	v_fmac_f64_e32 v[88:89], v[90:91], v[218:219]
	v_mul_f64 v[90:91], v[108:109], v[212:213]
	v_mul_f64 v[108:109], v[154:155], v[232:233]
	v_add_f64 v[76:77], v[58:59], -v[54:55]
	v_add_f64 v[154:155], v[72:73], -v[186:187]
	v_add_f64 v[46:47], v[46:47], v[68:69]
	v_add_f64 v[76:77], v[76:77], v[154:155]
	;; [unrolled: 1-line block ×4, first 2 shown]
	v_fmac_f64_e32 v[56:57], s[16:17], v[76:77]
	v_fmac_f64_e32 v[0:1], s[16:17], v[76:77]
	v_fma_f64 v[46:47], -0.5, v[46:47], v[2:3]
	v_add_f64 v[76:77], v[54:55], -v[186:187]
	v_fma_f64 v[54:55], s[18:19], v[76:77], v[46:47]
	v_add_f64 v[72:73], v[58:59], -v[72:73]
	v_add_f64 v[58:59], v[64:65], -v[66:67]
	;; [unrolled: 1-line block ×3, first 2 shown]
	v_fmac_f64_e32 v[46:47], s[10:11], v[76:77]
	v_fmac_f64_e32 v[54:55], s[20:21], v[72:73]
	v_add_f64 v[58:59], v[58:59], v[154:155]
	v_fmac_f64_e32 v[46:47], s[2:3], v[72:73]
	v_fmac_f64_e32 v[54:55], s[16:17], v[58:59]
	;; [unrolled: 1-line block ×3, first 2 shown]
	v_add_f64 v[58:59], v[64:65], v[70:71]
	v_fmac_f64_e32 v[2:3], -0.5, v[58:59]
	v_fma_f64 v[58:59], s[10:11], v[72:73], v[2:3]
	v_add_f64 v[64:65], v[66:67], -v[64:65]
	v_add_f64 v[66:67], v[68:69], -v[70:71]
	v_fmac_f64_e32 v[2:3], s[18:19], v[72:73]
	v_fmac_f64_e32 v[58:59], s[20:21], v[76:77]
	v_add_f64 v[64:65], v[64:65], v[66:67]
	v_fmac_f64_e32 v[2:3], s[2:3], v[76:77]
	v_fmac_f64_e32 v[58:59], s[16:17], v[64:65]
	;; [unrolled: 1-line block ×3, first 2 shown]
	v_add_f64 v[64:65], v[24:25], v[74:75]
	v_add_f64 v[64:65], v[64:65], v[78:79]
	;; [unrolled: 1-line block ×3, first 2 shown]
	v_fmac_f64_e32 v[90:91], v[110:111], v[210:211]
	v_add_f64 v[68:69], v[64:65], v[100:101]
	v_add_f64 v[64:65], v[78:79], v[96:97]
	v_fma_f64 v[64:65], -0.5, v[64:65], v[24:25]
	v_add_f64 v[66:67], v[84:85], -v[90:91]
	v_fma_f64 v[72:73], s[10:11], v[66:67], v[64:65]
	v_add_f64 v[70:71], v[86:87], -v[88:89]
	v_add_f64 v[76:77], v[74:75], -v[78:79]
	;; [unrolled: 1-line block ×3, first 2 shown]
	v_fmac_f64_e32 v[64:65], s[18:19], v[66:67]
	v_fmac_f64_e32 v[72:73], s[2:3], v[70:71]
	v_add_f64 v[76:77], v[76:77], v[154:155]
	v_fmac_f64_e32 v[64:65], s[20:21], v[70:71]
	v_fmac_f64_e32 v[72:73], s[16:17], v[76:77]
	;; [unrolled: 1-line block ×3, first 2 shown]
	v_add_f64 v[76:77], v[74:75], v[100:101]
	v_fmac_f64_e32 v[24:25], -0.5, v[76:77]
	v_fma_f64 v[76:77], s[18:19], v[70:71], v[24:25]
	v_fmac_f64_e32 v[24:25], s[10:11], v[70:71]
	v_fmac_f64_e32 v[76:77], s[2:3], v[66:67]
	;; [unrolled: 1-line block ×3, first 2 shown]
	v_add_f64 v[66:67], v[26:27], v[84:85]
	v_add_f64 v[66:67], v[66:67], v[86:87]
	;; [unrolled: 1-line block ×3, first 2 shown]
	v_fmac_f64_e32 v[108:109], v[156:157], v[230:231]
	v_add_f64 v[154:155], v[78:79], -v[74:75]
	v_add_f64 v[156:157], v[96:97], -v[100:101]
	v_add_f64 v[70:71], v[66:67], v[90:91]
	v_add_f64 v[66:67], v[86:87], v[88:89]
	;; [unrolled: 1-line block ×3, first 2 shown]
	v_fma_f64 v[66:67], -0.5, v[66:67], v[26:27]
	v_add_f64 v[100:101], v[74:75], -v[100:101]
	v_fmac_f64_e32 v[76:77], s[16:17], v[154:155]
	v_fmac_f64_e32 v[24:25], s[16:17], v[154:155]
	v_fma_f64 v[74:75], s[18:19], v[100:101], v[66:67]
	v_add_f64 v[96:97], v[78:79], -v[96:97]
	v_add_f64 v[78:79], v[84:85], -v[86:87]
	;; [unrolled: 1-line block ×3, first 2 shown]
	v_fmac_f64_e32 v[66:67], s[10:11], v[100:101]
	v_fmac_f64_e32 v[74:75], s[20:21], v[96:97]
	v_add_f64 v[78:79], v[78:79], v[154:155]
	v_fmac_f64_e32 v[66:67], s[2:3], v[96:97]
	v_fmac_f64_e32 v[74:75], s[16:17], v[78:79]
	;; [unrolled: 1-line block ×3, first 2 shown]
	v_add_f64 v[78:79], v[84:85], v[90:91]
	v_fmac_f64_e32 v[26:27], -0.5, v[78:79]
	v_fma_f64 v[78:79], s[10:11], v[96:97], v[26:27]
	v_add_f64 v[84:85], v[86:87], -v[84:85]
	v_add_f64 v[86:87], v[88:89], -v[90:91]
	v_fmac_f64_e32 v[26:27], s[18:19], v[96:97]
	v_fmac_f64_e32 v[78:79], s[20:21], v[100:101]
	v_add_f64 v[84:85], v[84:85], v[86:87]
	v_fmac_f64_e32 v[26:27], s[2:3], v[100:101]
	v_fmac_f64_e32 v[78:79], s[16:17], v[84:85]
	;; [unrolled: 1-line block ×3, first 2 shown]
	v_add_f64 v[84:85], v[20:21], v[98:99]
	v_mul_f64 v[136:137], v[136:137], v[236:237]
	v_add_f64 v[84:85], v[84:85], v[102:103]
	v_fmac_f64_e32 v[136:137], v[138:139], v[234:235]
	v_mul_f64 v[138:139], v[166:167], v[228:229]
	v_add_f64 v[84:85], v[84:85], v[140:141]
	v_mul_f64 v[62:63], v[112:113], v[208:209]
	v_fmac_f64_e32 v[138:139], v[168:169], v[226:227]
	v_add_f64 v[88:89], v[84:85], v[142:143]
	v_add_f64 v[84:85], v[102:103], v[140:141]
	v_fmac_f64_e32 v[62:63], v[114:115], v[206:207]
	v_fma_f64 v[84:85], -0.5, v[84:85], v[20:21]
	v_add_f64 v[86:87], v[60:61], -v[138:139]
	v_fma_f64 v[96:97], s[10:11], v[86:87], v[84:85]
	v_add_f64 v[90:91], v[62:63], -v[136:137]
	v_add_f64 v[100:101], v[98:99], -v[102:103]
	;; [unrolled: 1-line block ×3, first 2 shown]
	v_fmac_f64_e32 v[84:85], s[18:19], v[86:87]
	v_fmac_f64_e32 v[96:97], s[2:3], v[90:91]
	v_add_f64 v[100:101], v[100:101], v[154:155]
	v_fmac_f64_e32 v[84:85], s[20:21], v[90:91]
	v_fmac_f64_e32 v[96:97], s[16:17], v[100:101]
	;; [unrolled: 1-line block ×3, first 2 shown]
	v_add_f64 v[100:101], v[98:99], v[142:143]
	v_fmac_f64_e32 v[20:21], -0.5, v[100:101]
	v_fma_f64 v[100:101], s[18:19], v[90:91], v[20:21]
	v_fmac_f64_e32 v[20:21], s[10:11], v[90:91]
	v_fmac_f64_e32 v[100:101], s[2:3], v[86:87]
	;; [unrolled: 1-line block ×3, first 2 shown]
	v_add_f64 v[86:87], v[22:23], v[60:61]
	v_add_f64 v[86:87], v[86:87], v[62:63]
	;; [unrolled: 1-line block ×3, first 2 shown]
	v_add_f64 v[154:155], v[102:103], -v[98:99]
	v_add_f64 v[156:157], v[140:141], -v[142:143]
	v_add_f64 v[90:91], v[86:87], v[138:139]
	v_add_f64 v[86:87], v[62:63], v[136:137]
	;; [unrolled: 1-line block ×3, first 2 shown]
	v_fma_f64 v[86:87], -0.5, v[86:87], v[22:23]
	v_add_f64 v[142:143], v[98:99], -v[142:143]
	v_fmac_f64_e32 v[100:101], s[16:17], v[154:155]
	v_fmac_f64_e32 v[20:21], s[16:17], v[154:155]
	v_fma_f64 v[98:99], s[18:19], v[142:143], v[86:87]
	v_add_f64 v[140:141], v[102:103], -v[140:141]
	v_add_f64 v[102:103], v[60:61], -v[62:63]
	;; [unrolled: 1-line block ×3, first 2 shown]
	v_fmac_f64_e32 v[86:87], s[10:11], v[142:143]
	v_fmac_f64_e32 v[98:99], s[20:21], v[140:141]
	v_add_f64 v[102:103], v[102:103], v[154:155]
	v_fmac_f64_e32 v[86:87], s[2:3], v[140:141]
	v_fmac_f64_e32 v[98:99], s[16:17], v[102:103]
	;; [unrolled: 1-line block ×3, first 2 shown]
	v_add_f64 v[102:103], v[60:61], v[138:139]
	v_fmac_f64_e32 v[22:23], -0.5, v[102:103]
	v_fma_f64 v[102:103], s[10:11], v[140:141], v[22:23]
	v_add_f64 v[60:61], v[62:63], -v[60:61]
	v_add_f64 v[62:63], v[136:137], -v[138:139]
	v_fmac_f64_e32 v[22:23], s[18:19], v[140:141]
	v_fmac_f64_e32 v[102:103], s[20:21], v[142:143]
	v_add_f64 v[60:61], v[60:61], v[62:63]
	v_fmac_f64_e32 v[22:23], s[2:3], v[142:143]
	v_fmac_f64_e32 v[102:103], s[16:17], v[60:61]
	;; [unrolled: 1-line block ×3, first 2 shown]
	v_add_f64 v[60:61], v[16:17], v[116:117]
	v_add_f64 v[60:61], v[60:61], v[118:119]
	v_mul_f64 v[114:115], v[170:171], v[240:241]
	v_add_f64 v[60:61], v[60:61], v[126:127]
	v_mul_f64 v[110:111], v[158:159], v[224:225]
	v_mul_f64 v[112:113], v[162:163], v[244:245]
	v_fmac_f64_e32 v[114:115], v[172:173], v[238:239]
	v_add_f64 v[136:137], v[60:61], v[130:131]
	v_add_f64 v[60:61], v[118:119], v[126:127]
	v_fmac_f64_e32 v[110:111], v[160:161], v[222:223]
	v_fmac_f64_e32 v[112:113], v[164:165], v[242:243]
	v_fma_f64 v[60:61], -0.5, v[60:61], v[16:17]
	v_add_f64 v[62:63], v[108:109], -v[114:115]
	v_fma_f64 v[140:141], s[10:11], v[62:63], v[60:61]
	v_add_f64 v[138:139], v[110:111], -v[112:113]
	v_add_f64 v[142:143], v[116:117], -v[118:119]
	;; [unrolled: 1-line block ×3, first 2 shown]
	v_fmac_f64_e32 v[60:61], s[18:19], v[62:63]
	v_fmac_f64_e32 v[140:141], s[2:3], v[138:139]
	v_add_f64 v[142:143], v[142:143], v[154:155]
	v_fmac_f64_e32 v[60:61], s[20:21], v[138:139]
	v_fmac_f64_e32 v[140:141], s[16:17], v[142:143]
	;; [unrolled: 1-line block ×3, first 2 shown]
	v_add_f64 v[142:143], v[116:117], v[130:131]
	v_fmac_f64_e32 v[16:17], -0.5, v[142:143]
	v_fma_f64 v[154:155], s[18:19], v[138:139], v[16:17]
	v_fmac_f64_e32 v[16:17], s[10:11], v[138:139]
	v_fmac_f64_e32 v[154:155], s[2:3], v[62:63]
	;; [unrolled: 1-line block ×3, first 2 shown]
	v_add_f64 v[62:63], v[18:19], v[108:109]
	v_add_f64 v[62:63], v[62:63], v[110:111]
	;; [unrolled: 1-line block ×3, first 2 shown]
	v_add_f64 v[142:143], v[118:119], -v[116:117]
	v_add_f64 v[156:157], v[126:127], -v[130:131]
	v_add_f64 v[138:139], v[62:63], v[114:115]
	v_add_f64 v[62:63], v[110:111], v[112:113]
	v_add_f64 v[142:143], v[142:143], v[156:157]
	v_fma_f64 v[62:63], -0.5, v[62:63], v[18:19]
	v_add_f64 v[116:117], v[116:117], -v[130:131]
	v_fmac_f64_e32 v[154:155], s[16:17], v[142:143]
	v_fmac_f64_e32 v[16:17], s[16:17], v[142:143]
	v_fma_f64 v[142:143], s[18:19], v[116:117], v[62:63]
	v_add_f64 v[118:119], v[118:119], -v[126:127]
	v_add_f64 v[126:127], v[108:109], -v[110:111]
	;; [unrolled: 1-line block ×3, first 2 shown]
	v_fmac_f64_e32 v[62:63], s[10:11], v[116:117]
	v_fmac_f64_e32 v[142:143], s[20:21], v[118:119]
	v_add_f64 v[126:127], v[126:127], v[130:131]
	v_fmac_f64_e32 v[62:63], s[2:3], v[118:119]
	v_fmac_f64_e32 v[142:143], s[16:17], v[126:127]
	;; [unrolled: 1-line block ×3, first 2 shown]
	v_add_f64 v[126:127], v[108:109], v[114:115]
	v_fmac_f64_e32 v[18:19], -0.5, v[126:127]
	v_fma_f64 v[156:157], s[10:11], v[118:119], v[18:19]
	v_add_f64 v[108:109], v[110:111], -v[108:109]
	v_add_f64 v[110:111], v[112:113], -v[114:115]
	v_fmac_f64_e32 v[18:19], s[18:19], v[118:119]
	v_fmac_f64_e32 v[156:157], s[20:21], v[116:117]
	v_add_f64 v[108:109], v[108:109], v[110:111]
	v_fmac_f64_e32 v[18:19], s[2:3], v[116:117]
	v_fmac_f64_e32 v[156:157], s[16:17], v[108:109]
	;; [unrolled: 1-line block ×3, first 2 shown]
	v_mul_u32_u24_e32 v108, 0x96, v144
	v_add_lshl_u32 v108, v108, v145, 4
	ds_write_b128 v108, v[32:35]
	ds_write_b128 v108, v[36:39] offset:480
	ds_write_b128 v108, v[40:43] offset:960
	;; [unrolled: 1-line block ×3, first 2 shown]
	v_mul_u32_u24_e32 v4, 0x96, v146
	s_movk_i32 s2, 0x96
	v_add_lshl_u32 v4, v4, v147, 4
	scratch_store_dword off, v108, off offset:268 ; 4-byte Folded Spill
	ds_write_b128 v108, v[28:31] offset:1920
	ds_write_b128 v4, v[48:51]
	ds_write_b128 v4, v[52:55] offset:480
	ds_write_b128 v4, v[56:59] offset:960
	;; [unrolled: 1-line block ×3, first 2 shown]
	v_mad_legacy_u16 v0, v148, s2, v149
	v_lshlrev_b32_e32 v0, 4, v0
	scratch_store_dword off, v4, off offset:272 ; 4-byte Folded Spill
	ds_write_b128 v4, v[44:47] offset:1920
	ds_write_b128 v0, v[68:71]
	ds_write_b128 v0, v[72:75] offset:480
	ds_write_b128 v0, v[76:79] offset:960
	;; [unrolled: 1-line block ×3, first 2 shown]
	scratch_store_dword off, v0, off offset:276 ; 4-byte Folded Spill
	ds_write_b128 v0, v[64:67] offset:1920
	v_mad_legacy_u16 v0, v150, s2, v151
	v_lshlrev_b32_e32 v0, 4, v0
	ds_write_b128 v0, v[88:91]
	ds_write_b128 v0, v[96:99] offset:480
	ds_write_b128 v0, v[100:103] offset:960
	;; [unrolled: 1-line block ×3, first 2 shown]
	scratch_store_dword off, v0, off offset:280 ; 4-byte Folded Spill
	ds_write_b128 v0, v[84:87] offset:1920
	v_mad_legacy_u16 v0, v152, s2, v153
	v_lshlrev_b32_e32 v0, 4, v0
	ds_write_b128 v0, v[136:139]
	ds_write_b128 v0, v[140:143] offset:480
	ds_write_b128 v0, v[154:157] offset:960
	;; [unrolled: 1-line block ×3, first 2 shown]
	scratch_store_dword off, v0, off offset:284 ; 4-byte Folded Spill
	ds_write_b128 v0, v[60:63] offset:1920
	s_waitcnt lgkmcnt(0)
	s_barrier
	ds_read_b128 v[96:99], v254 offset:1440
	ds_read_b128 v[88:91], v254 offset:2880
	;; [unrolled: 1-line block ×22, first 2 shown]
	ds_read_b128 v[100:103], v254
	ds_read_b128 v[108:111], v254 offset:34080
	v_accvgpr_write_b32 a207, v205
	v_accvgpr_write_b32 a199, v197
	;; [unrolled: 1-line block ×56, first 2 shown]
	s_and_saveexec_b64 s[2:3], s[0:1]
	s_cbranch_execz .LBB0_13
; %bb.12:
	ds_read_b128 v[8:11], v254 offset:23520
	ds_read_b128 v[60:63], v254 offset:11520
	;; [unrolled: 1-line block ×3, first 2 shown]
.LBB0_13:
	s_or_b64 exec, exec, s[2:3]
	v_accvgpr_read_b32 v195, a1
	v_accvgpr_read_b32 v194, a0
	v_lshlrev_b32_e32 v124, 5, v194
	global_load_dwordx4 v[138:141], v124, s[8:9] offset:2256
	global_load_dwordx4 v[142:145], v124, s[8:9] offset:2240
	s_movk_i32 s2, 0xffc4
	s_mov_b32 s3, -1
	s_mov_b32 s11, 0xbfebb67a
	s_waitcnt vmcnt(1) lgkmcnt(3)
	v_mul_f64 v[136:137], v[4:5], v[140:141]
	s_waitcnt vmcnt(0)
	v_mul_f64 v[126:127], v[118:119], v[144:145]
	v_fma_f64 v[126:127], v[116:117], v[142:143], -v[126:127]
	v_mul_f64 v[130:131], v[116:117], v[144:145]
	v_mul_f64 v[116:117], v[6:7], v[140:141]
	v_fmac_f64_e32 v[130:131], v[118:119], v[142:143]
	v_fma_f64 v[118:119], v[4:5], v[138:139], -v[116:117]
	v_lshl_add_u64 v[4:5], v[194:195], 0, s[2:3]
	v_cmp_gt_u16_e64 s[2:3], 60, v194
	v_accvgpr_write_b32 a167, v145
	v_accvgpr_write_b32 a166, v144
	v_cndmask_b32_e64 v117, v5, v135, s[2:3]
	v_cndmask_b32_e64 v116, v4, v134, s[2:3]
	v_lshlrev_b64 v[4:5], 5, v[116:117]
	v_lshl_add_u64 v[4:5], s[8:9], 0, v[4:5]
	v_accvgpr_write_b32 a165, v143
	v_accvgpr_write_b32 a164, v142
	global_load_dwordx4 v[146:149], v[4:5], off offset:2256
	global_load_dwordx4 v[142:145], v[4:5], off offset:2240
	v_accvgpr_write_b32 a163, v141
	v_accvgpr_write_b32 a162, v140
	;; [unrolled: 1-line block ×4, first 2 shown]
	v_fmac_f64_e32 v[136:137], v[6:7], v[138:139]
	s_mov_b32 s2, 0xe8584caa
	s_mov_b32 s3, 0x3febb67a
	s_mov_b32 s10, s2
	s_waitcnt vmcnt(1)
	v_accvgpr_write_b32 a251, v149
	s_waitcnt vmcnt(0)
	v_mul_f64 v[4:5], v[18:19], v[144:145]
	v_accvgpr_write_b32 a50, v142
	v_fma_f64 v[138:139], v[16:17], v[142:143], -v[4:5]
	v_mul_f64 v[140:141], v[16:17], v[144:145]
	v_accvgpr_write_b32 a51, v143
	v_accvgpr_write_b32 a52, v144
	v_accvgpr_write_b32 a53, v145
	v_mul_f64 v[4:5], v[2:3], v[148:149]
	v_mul_f64 v[144:145], v[0:1], v[148:149]
	v_fmac_f64_e32 v[140:141], v[18:19], v[142:143]
	v_fma_f64 v[142:143], v[0:1], v[146:147], -v[4:5]
	v_fmac_f64_e32 v[144:145], v[2:3], v[146:147]
	global_load_dwordx4 v[2:5], v124, s[8:9] offset:3216
	global_load_dwordx4 v[16:19], v124, s[8:9] offset:3200
	v_accvgpr_write_b32 a250, v148
	v_accvgpr_write_b32 a249, v147
	;; [unrolled: 1-line block ×3, first 2 shown]
	s_waitcnt vmcnt(1)
	v_mul_f64 v[152:153], v[20:21], v[4:5]
	s_waitcnt vmcnt(0)
	v_mul_f64 v[0:1], v[26:27], v[18:19]
	v_fma_f64 v[146:147], v[24:25], v[16:17], -v[0:1]
	v_mul_f64 v[0:1], v[22:23], v[4:5]
	v_fma_f64 v[150:151], v[20:21], v[2:3], -v[0:1]
	v_lshrrev_b16_e32 v0, 1, v120
	v_mul_f64 v[148:149], v[24:25], v[18:19]
	v_accvgpr_write_b32 a67, v19
	v_mul_u32_u24_e32 v0, 0xda75, v0
	v_accvgpr_write_b32 a66, v18
	v_accvgpr_write_b32 a65, v17
	;; [unrolled: 1-line block ×3, first 2 shown]
	v_fmac_f64_e32 v[148:149], v[26:27], v[16:17]
	v_lshrrev_b32_e32 v16, 22, v0
	v_mul_lo_u16_e32 v0, 0x96, v16
	v_sub_u16_e32 v17, v120, v0
	v_lshlrev_b16_e32 v124, 5, v17
	v_accvgpr_write_b32 a255, v5
	v_lshl_add_u64 v[0:1], s[8:9], 0, v[124:125]
	v_accvgpr_write_b32 a254, v4
	v_accvgpr_write_b32 a253, v3
	;; [unrolled: 1-line block ×3, first 2 shown]
	v_fmac_f64_e32 v[152:153], v[22:23], v[2:3]
	global_load_dwordx4 v[2:5], v[0:1], off offset:2256
	global_load_dwordx4 v[18:21], v[0:1], off offset:2240
	s_waitcnt vmcnt(1)
	v_mul_f64 v[160:161], v[28:29], v[4:5]
	s_waitcnt vmcnt(0)
	v_mul_f64 v[0:1], v[34:35], v[20:21]
	v_fma_f64 v[154:155], v[32:33], v[18:19], -v[0:1]
	v_mul_f64 v[0:1], v[30:31], v[4:5]
	v_fma_f64 v[158:159], v[28:29], v[2:3], -v[0:1]
	v_lshrrev_b16_e32 v0, 1, v128
	v_mul_u32_u24_e32 v0, 0xda75, v0
	v_lshrrev_b32_e32 v0, 22, v0
	v_mul_f64 v[156:157], v[32:33], v[20:21]
	v_accvgpr_write_b32 a75, v21
	v_mul_lo_u16_e32 v0, 0x96, v0
	v_accvgpr_write_b32 a74, v20
	v_accvgpr_write_b32 a73, v19
	;; [unrolled: 1-line block ×3, first 2 shown]
	v_fmac_f64_e32 v[156:157], v[34:35], v[18:19]
	v_sub_u16_e32 v18, v128, v0
	v_lshlrev_b16_e32 v124, 5, v18
	v_accvgpr_write_b32 a71, v5
	v_lshl_add_u64 v[0:1], s[8:9], 0, v[124:125]
	v_accvgpr_write_b32 a70, v4
	v_accvgpr_write_b32 a69, v3
	;; [unrolled: 1-line block ×3, first 2 shown]
	v_fmac_f64_e32 v[160:161], v[30:31], v[2:3]
	global_load_dwordx4 v[2:5], v[0:1], off offset:2256
	global_load_dwordx4 v[20:23], v[0:1], off offset:2240
	s_waitcnt vmcnt(1)
	v_mul_f64 v[168:169], v[36:37], v[4:5]
	s_waitcnt vmcnt(0)
	v_mul_f64 v[0:1], v[42:43], v[22:23]
	v_fma_f64 v[162:163], v[40:41], v[20:21], -v[0:1]
	v_mul_f64 v[0:1], v[38:39], v[4:5]
	v_fma_f64 v[166:167], v[36:37], v[2:3], -v[0:1]
	v_lshrrev_b16_e32 v0, 1, v123
	v_mul_u32_u24_e32 v0, 0xda75, v0
	v_lshrrev_b32_e32 v0, 22, v0
	v_mul_lo_u16_e32 v0, 0x96, v0
	v_sub_u16_e32 v19, v123, v0
	v_lshlrev_b16_e32 v124, 5, v19
	v_mul_f64 v[164:165], v[40:41], v[22:23]
	v_accvgpr_write_b32 a83, v23
	v_accvgpr_write_b32 a79, v5
	v_lshl_add_u64 v[0:1], s[8:9], 0, v[124:125]
	v_accvgpr_write_b32 a82, v22
	v_accvgpr_write_b32 a81, v21
	;; [unrolled: 1-line block ×3, first 2 shown]
	v_fmac_f64_e32 v[164:165], v[42:43], v[20:21]
	v_accvgpr_write_b32 a78, v4
	v_accvgpr_write_b32 a77, v3
	;; [unrolled: 1-line block ×3, first 2 shown]
	v_fmac_f64_e32 v[168:169], v[38:39], v[2:3]
	global_load_dwordx4 v[2:5], v[0:1], off offset:2256
	global_load_dwordx4 v[20:23], v[0:1], off offset:2240
	s_waitcnt vmcnt(1)
	v_mul_f64 v[176:177], v[44:45], v[4:5]
	s_waitcnt vmcnt(0)
	v_mul_f64 v[0:1], v[50:51], v[22:23]
	v_fma_f64 v[170:171], v[48:49], v[20:21], -v[0:1]
	v_mul_f64 v[0:1], v[46:47], v[4:5]
	v_fma_f64 v[174:175], v[44:45], v[2:3], -v[0:1]
	v_lshrrev_b16_e32 v0, 1, v122
	v_mul_f64 v[172:173], v[48:49], v[22:23]
	v_accvgpr_write_b32 a45, v23
	v_mul_u32_u24_e32 v0, 0xda75, v0
	v_accvgpr_write_b32 a44, v22
	v_accvgpr_write_b32 a43, v21
	;; [unrolled: 1-line block ×3, first 2 shown]
	v_fmac_f64_e32 v[172:173], v[50:51], v[20:21]
	v_lshrrev_b32_e32 v20, 22, v0
	v_mul_lo_u16_e32 v0, 0x96, v20
	v_sub_u16_e32 v21, v122, v0
	v_lshlrev_b16_e32 v124, 5, v21
	v_accvgpr_write_b32 a49, v5
	v_lshl_add_u64 v[0:1], s[8:9], 0, v[124:125]
	v_accvgpr_write_b32 a48, v4
	v_accvgpr_write_b32 a47, v3
	;; [unrolled: 1-line block ×3, first 2 shown]
	v_fmac_f64_e32 v[176:177], v[46:47], v[2:3]
	global_load_dwordx4 v[2:5], v[0:1], off offset:2256
	global_load_dwordx4 v[22:25], v[0:1], off offset:2240
	s_waitcnt vmcnt(1)
	v_mul_f64 v[182:183], v[52:53], v[4:5]
	s_waitcnt vmcnt(0)
	v_mul_f64 v[0:1], v[58:59], v[24:25]
	v_fma_f64 v[122:123], v[56:57], v[22:23], -v[0:1]
	v_mul_f64 v[0:1], v[54:55], v[4:5]
	v_fma_f64 v[180:181], v[52:53], v[2:3], -v[0:1]
	v_lshrrev_b16_e32 v0, 1, v184
	v_mul_u32_u24_e32 v0, 0xda75, v0
	v_lshrrev_b32_e32 v0, 22, v0
	v_mul_f64 v[178:179], v[56:57], v[24:25]
	v_accvgpr_write_b32 a37, v25
	v_mul_lo_u16_e32 v0, 0x96, v0
	v_accvgpr_write_b32 a36, v24
	v_accvgpr_write_b32 a35, v23
	v_accvgpr_write_b32 a34, v22
	v_fmac_f64_e32 v[178:179], v[58:59], v[22:23]
	v_sub_u16_e32 v22, v184, v0
	v_lshlrev_b16_e32 v124, 5, v22
	v_accvgpr_write_b32 a41, v5
	v_lshl_add_u64 v[0:1], s[8:9], 0, v[124:125]
	v_accvgpr_write_b32 a40, v4
	v_accvgpr_write_b32 a39, v3
	;; [unrolled: 1-line block ×3, first 2 shown]
	v_fmac_f64_e32 v[182:183], v[54:55], v[2:3]
	global_load_dwordx4 v[2:5], v[0:1], off offset:2256
	global_load_dwordx4 v[24:27], v[0:1], off offset:2240
	s_waitcnt vmcnt(1)
	v_accvgpr_write_b32 a33, v5
	s_waitcnt vmcnt(0) lgkmcnt(2)
	v_mul_f64 v[0:1], v[114:115], v[26:27]
	v_fma_f64 v[184:185], v[112:113], v[24:25], -v[0:1]
	v_mul_f64 v[112:113], v[112:113], v[26:27]
	s_waitcnt lgkmcnt(0)
	v_mul_f64 v[0:1], v[110:111], v[4:5]
	v_fmac_f64_e32 v[112:113], v[114:115], v[24:25]
	v_fma_f64 v[114:115], v[108:109], v[2:3], -v[0:1]
	v_lshrrev_b16_e32 v0, 1, v133
	v_mul_u32_u24_e32 v0, 0xda75, v0
	v_lshrrev_b32_e32 v0, 22, v0
	v_mul_lo_u16_e32 v0, 0x96, v0
	v_sub_u16_e32 v23, v133, v0
	v_lshlrev_b16_e32 v124, 5, v23
	v_accvgpr_write_b32 a29, v27
	v_lshl_add_u64 v[0:1], s[8:9], 0, v[124:125]
	v_accvgpr_write_b32 a28, v26
	v_accvgpr_write_b32 a27, v25
	;; [unrolled: 1-line block ×3, first 2 shown]
	global_load_dwordx4 v[24:27], v[0:1], off offset:2256
	global_load_dwordx4 v[28:31], v[0:1], off offset:2240
	v_mul_f64 v[108:109], v[108:109], v[4:5]
	v_accvgpr_write_b32 a32, v4
	v_accvgpr_write_b32 a31, v3
	v_accvgpr_write_b32 a30, v2
	v_fmac_f64_e32 v[108:109], v[110:111], v[2:3]
	s_barrier
	s_waitcnt vmcnt(1)
	v_mul_f64 v[6:7], v[12:13], v[26:27]
	s_waitcnt vmcnt(0)
	v_mul_f64 v[4:5], v[8:9], v[30:31]
	v_mul_f64 v[0:1], v[10:11], v[30:31]
	v_fmac_f64_e32 v[4:5], v[10:11], v[28:29]
	v_add_f64 v[10:11], v[126:127], v[118:119]
	v_fma_f64 v[0:1], v[8:9], v[28:29], -v[0:1]
	v_mul_f64 v[2:3], v[14:15], v[26:27]
	v_accvgpr_write_b32 a59, v27
	v_fmac_f64_e32 v[6:7], v[14:15], v[24:25]
	v_add_f64 v[8:9], v[100:101], v[126:127]
	v_fmac_f64_e32 v[100:101], -0.5, v[10:11]
	v_add_f64 v[10:11], v[130:131], -v[136:137]
	v_add_f64 v[14:15], v[130:131], v[136:137]
	v_fma_f64 v[2:3], v[12:13], v[24:25], -v[2:3]
	v_accvgpr_write_b32 a58, v26
	v_accvgpr_write_b32 a57, v25
	;; [unrolled: 1-line block ×3, first 2 shown]
	v_fma_f64 v[12:13], s[2:3], v[10:11], v[100:101]
	v_fmac_f64_e32 v[100:101], s[10:11], v[10:11]
	v_add_f64 v[10:11], v[102:103], v[130:131]
	v_fmac_f64_e32 v[102:103], -0.5, v[14:15]
	v_add_f64 v[24:25], v[126:127], -v[118:119]
	v_fma_f64 v[14:15], s[10:11], v[24:25], v[102:103]
	v_fmac_f64_e32 v[102:103], s[2:3], v[24:25]
	v_add_f64 v[24:25], v[96:97], v[138:139]
	v_add_f64 v[124:125], v[24:25], v[142:143]
	v_add_f64 v[24:25], v[138:139], v[142:143]
	v_fmac_f64_e32 v[96:97], -0.5, v[24:25]
	v_add_f64 v[24:25], v[140:141], -v[144:145]
	v_add_f64 v[10:11], v[10:11], v[136:137]
	v_fma_f64 v[136:137], s[2:3], v[24:25], v[96:97]
	v_fmac_f64_e32 v[96:97], s[10:11], v[24:25]
	v_add_f64 v[24:25], v[98:99], v[140:141]
	v_add_f64 v[126:127], v[24:25], v[144:145]
	v_add_f64 v[24:25], v[140:141], v[144:145]
	v_fmac_f64_e32 v[98:99], -0.5, v[24:25]
	v_add_f64 v[24:25], v[138:139], -v[142:143]
	v_fma_f64 v[138:139], s[10:11], v[24:25], v[98:99]
	v_fmac_f64_e32 v[98:99], s[2:3], v[24:25]
	v_add_f64 v[24:25], v[88:89], v[146:147]
	v_add_f64 v[140:141], v[24:25], v[150:151]
	v_add_f64 v[24:25], v[146:147], v[150:151]
	v_fmac_f64_e32 v[88:89], -0.5, v[24:25]
	v_add_f64 v[24:25], v[148:149], -v[152:153]
	;; [unrolled: 7-line block ×13, first 2 shown]
	v_fma_f64 v[112:113], s[10:11], v[24:25], v[66:67]
	v_fmac_f64_e32 v[66:67], s[2:3], v[24:25]
	v_add_f64 v[24:25], v[0:1], v[2:3]
	v_fma_f64 v[144:145], -0.5, v[24:25], v[60:61]
	v_add_f64 v[24:25], v[4:5], -v[6:7]
	v_fma_f64 v[148:149], s[2:3], v[24:25], v[144:145]
	v_fmac_f64_e32 v[144:145], s[10:11], v[24:25]
	v_add_f64 v[24:25], v[4:5], v[6:7]
	v_add_f64 v[8:9], v[8:9], v[118:119]
	v_fma_f64 v[146:147], -0.5, v[24:25], v[62:63]
	v_add_f64 v[24:25], v[0:1], -v[2:3]
	v_fma_f64 v[150:151], s[10:11], v[24:25], v[146:147]
	v_fmac_f64_e32 v[146:147], s[2:3], v[24:25]
	ds_write_b128 v254, v[8:11]
	ds_write_b128 v254, v[12:15] offset:2400
	ds_write_b128 v254, v[100:103] offset:4800
	v_cmp_lt_u16_e64 s[2:3], 59, v194
	v_mov_b32_e32 v8, 0x1c2
	s_movk_i32 s10, 0x1c2
	v_cndmask_b32_e64 v8, 0, v8, s[2:3]
	v_add_lshl_u32 v8, v116, v8, 4
	ds_write_b128 v8, v[124:127]
	ds_write_b128 v8, v[136:139] offset:2400
	v_accvgpr_write_b32 a84, v8
	ds_write_b128 v8, v[96:99] offset:4800
	ds_write_b128 v254, v[140:143] offset:7680
	;; [unrolled: 1-line block ×4, first 2 shown]
	v_mad_legacy_u16 v8, v16, s10, v17
	v_lshlrev_b32_e32 v8, 4, v8
	ds_write_b128 v8, v[190:193]
	ds_write_b128 v8, v[152:155] offset:2400
	v_accvgpr_write_b32 a85, v8
	ds_write_b128 v8, v[84:87] offset:4800
	v_lshlrev_b32_e32 v8, 4, v18
	ds_write_b128 v8, v[156:159] offset:14400
	ds_write_b128 v8, v[160:163] offset:16800
	v_accvgpr_write_b32 a98, v8
	ds_write_b128 v8, v[76:79] offset:19200
	v_lshlrev_b32_e32 v8, 4, v19
	ds_write_b128 v8, v[164:167] offset:21600
	ds_write_b128 v8, v[168:171] offset:24000
	v_accvgpr_write_b32 a55, v8
	ds_write_b128 v8, v[72:75] offset:26400
	v_mad_legacy_u16 v8, v20, s10, v21
	v_lshlrev_b32_e32 v8, 4, v8
	ds_write_b128 v8, v[172:175]
	ds_write_b128 v8, v[176:179] offset:2400
	v_accvgpr_write_b32 a99, v8
	ds_write_b128 v8, v[68:71] offset:4800
	v_lshlrev_b32_e32 v8, 4, v22
	v_accvgpr_write_b32 a63, v31
	ds_write_b128 v8, v[180:183] offset:28800
	ds_write_b128 v8, v[110:113] offset:31200
	v_accvgpr_write_b32 a22, v8
	ds_write_b128 v8, v[64:67] offset:33600
	v_lshlrev_b32_e32 v8, 4, v23
	v_accvgpr_write_b32 a62, v30
	v_accvgpr_write_b32 a61, v29
	;; [unrolled: 1-line block ×4, first 2 shown]
	s_and_saveexec_b64 s[2:3], s[0:1]
	s_cbranch_execz .LBB0_15
; %bb.14:
	v_add_f64 v[4:5], v[62:63], v[4:5]
	v_add_f64 v[0:1], v[60:61], v[0:1]
	;; [unrolled: 1-line block ×4, first 2 shown]
	v_accvgpr_read_b32 v0, a1
	ds_write_b128 v0, v[2:5] offset:28800
	ds_write_b128 v0, v[148:151] offset:31200
	;; [unrolled: 1-line block ×3, first 2 shown]
.LBB0_15:
	s_or_b64 exec, exec, s[2:3]
	v_accvgpr_read_b32 v2, a0
	v_lshlrev_b32_e32 v0, 4, v2
	v_mov_b32_e32 v1, 0
	v_lshl_add_u64 v[248:249], s[14:15], 0, v[0:1]
	v_lshlrev_b32_e32 v0, 6, v2
	v_lshl_add_u64 v[2:3], s[8:9], 0, v[0:1]
	s_movk_i32 s18, 0x1000
	v_add_co_u32_e64 v4, s[2:3], s18, v2
	s_mov_b64 s[10:11], 0x1b80
	s_nop 0
	v_addc_co_u32_e64 v5, s[2:3], 0, v3, s[2:3]
	s_waitcnt lgkmcnt(0)
	s_barrier
	global_load_dwordx4 v[60:63], v[4:5], off offset:2944
	v_lshl_add_u64 v[2:3], v[2:3], 0, s[10:11]
	v_lshlrev_b32_e32 v0, 6, v134
	global_load_dwordx4 v[72:75], v[2:3], off offset:16
	global_load_dwordx4 v[68:71], v[2:3], off offset:32
	;; [unrolled: 1-line block ×3, first 2 shown]
	v_lshl_add_u64 v[2:3], s[8:9], 0, v[0:1]
	v_add_co_u32_e64 v4, s[2:3], s18, v2
	v_lshl_add_u64 v[6:7], v[2:3], 0, s[10:11]
	s_nop 0
	v_addc_co_u32_e64 v5, s[2:3], 0, v3, s[2:3]
	global_load_dwordx4 v[8:11], v[4:5], off offset:2944
	v_lshlrev_b32_e32 v0, 6, v132
	global_load_dwordx4 v[76:79], v[6:7], off offset:32
	global_load_dwordx4 v[84:87], v[6:7], off offset:16
	v_lshl_add_u64 v[0:1], s[8:9], 0, v[0:1]
	ds_read_b128 v[176:179], v254
	ds_read_b128 v[172:175], v254 offset:1440
	ds_read_b128 v[2:5], v254 offset:14400
	;; [unrolled: 1-line block ×3, first 2 shown]
	global_load_dwordx4 v[12:15], v[6:7], off offset:48
	v_add_co_u32_e64 v6, s[2:3], s18, v0
	s_mov_b32 s15, 0xbfee6f0e
	s_nop 0
	v_addc_co_u32_e64 v7, s[2:3], 0, v1, s[2:3]
	v_lshl_add_u64 v[0:1], v[0:1], 0, s[10:11]
	global_load_dwordx4 v[88:91], v[6:7], off offset:2944
	global_load_dwordx4 v[96:99], v[0:1], off offset:32
	;; [unrolled: 1-line block ×3, first 2 shown]
	ds_read_b128 v[20:23], v254 offset:28800
	ds_read_b128 v[156:159], v254 offset:30240
	;; [unrolled: 1-line block ×4, first 2 shown]
	global_load_dwordx4 v[100:103], v[0:1], off offset:48
	v_lshlrev_b64 v[0:1], 6, v[120:121]
	v_lshl_add_u64 v[0:1], s[8:9], 0, v[0:1]
	v_add_co_u32_e64 v6, s[2:3], s18, v0
	s_mov_b32 s17, 0xbfe2cf23
	s_nop 0
	v_addc_co_u32_e64 v7, s[2:3], 0, v1, s[2:3]
	v_lshl_add_u64 v[0:1], v[0:1], 0, s[10:11]
	global_load_dwordx4 v[112:115], v[6:7], off offset:2944
	ds_read_b128 v[168:171], v254 offset:23040
	ds_read_b128 v[188:191], v254 offset:24480
	global_load_dwordx4 v[116:119], v[0:1], off offset:32
	global_load_dwordx4 v[124:127], v[0:1], off offset:16
	ds_read_b128 v[192:195], v254 offset:31680
	ds_read_b128 v[184:187], v254 offset:2880
	;; [unrolled: 1-line block ×3, first 2 shown]
	global_load_dwordx4 v[120:123], v[0:1], off offset:48
	v_lshlrev_b64 v[0:1], 6, v[128:129]
	v_lshl_add_u64 v[0:1], s[8:9], 0, v[0:1]
	v_add_co_u32_e64 v6, s[2:3], s18, v0
	s_mov_b32 s8, 0x134454ff
	s_nop 0
	v_addc_co_u32_e64 v7, s[2:3], 0, v1, s[2:3]
	global_load_dwordx4 v[128:131], v[6:7], off offset:2944
	v_lshl_add_u64 v[0:1], v[0:1], 0, s[10:11]
	ds_read_b128 v[196:199], v254 offset:17280
	ds_read_b128 v[200:203], v254 offset:18720
	global_load_dwordx4 v[132:135], v[0:1], off offset:32
	global_load_dwordx4 v[140:143], v[0:1], off offset:16
	ds_read_b128 v[204:207], v254 offset:7200
	ds_read_b128 v[152:155], v254 offset:5760
	;; [unrolled: 1-line block ×6, first 2 shown]
	global_load_dwordx4 v[136:139], v[0:1], off offset:48
	ds_read_b128 v[32:35], v254 offset:25920
	ds_read_b128 v[36:39], v254 offset:27360
	;; [unrolled: 1-line block ×4, first 2 shown]
	s_mov_b32 s9, 0x3fee6f0e
	s_mov_b32 s2, 0x4755a5e
	s_mov_b32 s14, s8
	s_mov_b32 s3, 0x3fe2cf23
	s_mov_b32 s10, 0x372fe950
	s_mov_b32 s16, s2
	s_mov_b32 s11, 0x3fd3c6ef
	s_waitcnt vmcnt(19) lgkmcnt(9)
	v_mul_f64 v[0:1], v[206:207], v[62:63]
	v_fma_f64 v[48:49], v[204:205], v[60:61], -v[0:1]
	s_waitcnt vmcnt(18)
	v_mul_f64 v[0:1], v[4:5], v[74:75]
	v_fma_f64 v[52:53], v[2:3], v[72:73], -v[0:1]
	s_waitcnt vmcnt(17) lgkmcnt(5)
	v_mul_f64 v[0:1], v[214:215], v[70:71]
	v_fma_f64 v[56:57], v[212:213], v[68:69], -v[0:1]
	s_waitcnt vmcnt(16)
	v_mul_f64 v[0:1], v[22:23], v[66:67]
	v_mul_f64 v[50:51], v[204:205], v[62:63]
	;; [unrolled: 1-line block ×3, first 2 shown]
	v_fma_f64 v[204:205], v[20:21], v[64:65], -v[0:1]
	s_waitcnt vmcnt(15)
	v_mul_f64 v[0:1], v[162:163], v[10:11]
	v_fmac_f64_e32 v[58:59], v[214:215], v[68:69]
	v_fma_f64 v[214:215], v[160:161], v[8:9], -v[0:1]
	s_waitcnt vmcnt(13)
	v_mul_f64 v[0:1], v[18:19], v[86:87]
	v_fma_f64 v[218:219], v[16:17], v[84:85], -v[0:1]
	v_mul_f64 v[0:1], v[170:171], v[78:79]
	v_fma_f64 v[226:227], v[168:169], v[76:77], -v[0:1]
	s_waitcnt vmcnt(12)
	v_mul_f64 v[0:1], v[158:159], v[14:15]
	v_fma_f64 v[228:229], v[156:157], v[12:13], -v[0:1]
	v_fmac_f64_e32 v[50:51], v[206:207], v[60:61]
	v_mul_f64 v[206:207], v[20:21], v[66:67]
	v_mul_f64 v[222:223], v[168:169], v[78:79]
	s_waitcnt vmcnt(11)
	v_mul_f64 v[0:1], v[166:167], v[90:91]
	v_fma_f64 v[230:231], v[164:165], v[88:89], -v[0:1]
	s_waitcnt vmcnt(9)
	v_mul_f64 v[0:1], v[198:199], v[110:111]
	v_fma_f64 v[234:235], v[196:197], v[108:109], -v[0:1]
	v_mul_f64 v[0:1], v[190:191], v[98:99]
	v_fma_f64 v[244:245], v[188:189], v[96:97], -v[0:1]
	s_waitcnt vmcnt(8)
	v_mul_f64 v[0:1], v[194:195], v[102:103]
	v_fma_f64 v[20:21], v[192:193], v[100:101], -v[0:1]
	v_mul_f64 v[236:237], v[164:165], v[90:91]
	v_fmac_f64_e32 v[222:223], v[170:171], v[76:77]
	v_mul_f64 v[54:55], v[2:3], v[74:75]
	v_fmac_f64_e32 v[206:207], v[22:23], v[64:65]
	s_waitcnt vmcnt(7)
	v_mul_f64 v[0:1], v[210:211], v[114:115]
	v_fma_f64 v[164:165], v[208:209], v[112:113], -v[0:1]
	s_waitcnt vmcnt(5)
	v_mul_f64 v[0:1], v[202:203], v[126:127]
	v_fma_f64 v[168:169], v[200:201], v[124:125], -v[0:1]
	s_waitcnt lgkmcnt(3)
	v_mul_f64 v[0:1], v[34:35], v[118:119]
	v_fma_f64 v[170:171], v[32:33], v[116:117], -v[0:1]
	s_waitcnt vmcnt(4) lgkmcnt(1)
	v_mul_f64 v[0:1], v[42:43], v[122:123]
	v_fma_f64 v[246:247], v[40:41], v[120:121], -v[0:1]
	v_mul_f64 v[242:243], v[192:193], v[102:103]
	v_fmac_f64_e32 v[54:55], v[4:5], v[72:73]
	v_fmac_f64_e32 v[236:237], v[166:167], v[88:89]
	v_mul_f64 v[240:241], v[188:189], v[98:99]
	s_waitcnt vmcnt(3)
	v_mul_f64 v[0:1], v[26:27], v[130:131]
	v_fma_f64 v[6:7], v[24:25], v[128:129], -v[0:1]
	v_mul_f64 v[250:251], v[24:25], v[130:131]
	v_add_f64 v[24:25], v[176:177], v[48:49]
	v_add_f64 v[24:25], v[24:25], v[52:53]
	;; [unrolled: 1-line block ×3, first 2 shown]
	s_waitcnt vmcnt(1)
	v_mul_f64 v[0:1], v[30:31], v[142:143]
	v_add_f64 v[192:193], v[24:25], v[204:205]
	v_add_f64 v[24:25], v[52:53], v[56:57]
	v_fma_f64 v[166:167], v[28:29], v[140:141], -v[0:1]
	v_mul_f64 v[0:1], v[28:29], v[142:143]
	v_fma_f64 v[188:189], -0.5, v[24:25], v[176:177]
	v_add_f64 v[24:25], v[50:51], -v[206:207]
	v_mul_f64 v[238:239], v[196:197], v[110:111]
	v_fmac_f64_e32 v[250:251], v[26:27], v[128:129]
	v_fmac_f64_e32 v[0:1], v[30:31], v[140:141]
	v_fma_f64 v[196:197], s[8:9], v[24:25], v[188:189]
	v_add_f64 v[26:27], v[54:55], -v[58:59]
	v_add_f64 v[28:29], v[48:49], -v[52:53]
	;; [unrolled: 1-line block ×3, first 2 shown]
	v_fmac_f64_e32 v[188:189], s[14:15], v[24:25]
	v_fmac_f64_e32 v[196:197], s[2:3], v[26:27]
	v_add_f64 v[28:29], v[28:29], v[30:31]
	v_fmac_f64_e32 v[188:189], s[16:17], v[26:27]
	v_fmac_f64_e32 v[196:197], s[10:11], v[28:29]
	;; [unrolled: 1-line block ×3, first 2 shown]
	v_add_f64 v[28:29], v[48:49], v[204:205]
	v_mul_f64 v[224:225], v[156:157], v[14:15]
	v_fmac_f64_e32 v[176:177], -0.5, v[28:29]
	v_fmac_f64_e32 v[224:225], v[158:159], v[12:13]
	v_mul_f64 v[158:159], v[200:201], v[126:127]
	v_fma_f64 v[200:201], s[14:15], v[26:27], v[176:177]
	v_fmac_f64_e32 v[176:177], s[8:9], v[26:27]
	v_fmac_f64_e32 v[200:201], s[2:3], v[24:25]
	;; [unrolled: 1-line block ×3, first 2 shown]
	v_add_f64 v[24:25], v[178:179], v[50:51]
	v_add_f64 v[24:25], v[24:25], v[54:55]
	;; [unrolled: 1-line block ×3, first 2 shown]
	v_fmac_f64_e32 v[242:243], v[194:195], v[100:101]
	v_add_f64 v[28:29], v[52:53], -v[48:49]
	v_add_f64 v[30:31], v[56:57], -v[204:205]
	v_add_f64 v[194:195], v[24:25], v[206:207]
	v_add_f64 v[24:25], v[54:55], v[58:59]
	v_fmac_f64_e32 v[240:241], v[190:191], v[96:97]
	v_add_f64 v[28:29], v[28:29], v[30:31]
	v_fma_f64 v[190:191], -0.5, v[24:25], v[178:179]
	v_add_f64 v[24:25], v[48:49], -v[204:205]
	v_fmac_f64_e32 v[238:239], v[198:199], v[108:109]
	v_fmac_f64_e32 v[200:201], s[10:11], v[28:29]
	;; [unrolled: 1-line block ×3, first 2 shown]
	v_fma_f64 v[198:199], s[14:15], v[24:25], v[190:191]
	v_add_f64 v[26:27], v[52:53], -v[56:57]
	v_add_f64 v[28:29], v[50:51], -v[54:55]
	;; [unrolled: 1-line block ×3, first 2 shown]
	v_fmac_f64_e32 v[190:191], s[8:9], v[24:25]
	v_fmac_f64_e32 v[198:199], s[16:17], v[26:27]
	v_add_f64 v[28:29], v[28:29], v[30:31]
	v_fmac_f64_e32 v[190:191], s[2:3], v[26:27]
	v_fmac_f64_e32 v[198:199], s[10:11], v[28:29]
	;; [unrolled: 1-line block ×3, first 2 shown]
	v_add_f64 v[28:29], v[50:51], v[206:207]
	v_fmac_f64_e32 v[178:179], -0.5, v[28:29]
	v_fmac_f64_e32 v[158:159], v[202:203], v[124:125]
	v_fma_f64 v[202:203], s[8:9], v[26:27], v[178:179]
	v_fmac_f64_e32 v[178:179], s[14:15], v[26:27]
	v_fmac_f64_e32 v[202:203], s[16:17], v[24:25]
	;; [unrolled: 1-line block ×3, first 2 shown]
	v_add_f64 v[24:25], v[172:173], v[214:215]
	v_add_f64 v[24:25], v[24:25], v[218:219]
	v_mul_f64 v[22:23], v[160:161], v[10:11]
	v_add_f64 v[24:25], v[24:25], v[226:227]
	v_fmac_f64_e32 v[22:23], v[162:163], v[8:9]
	v_mul_f64 v[220:221], v[16:17], v[86:87]
	v_mul_f64 v[156:157], v[208:209], v[114:115]
	v_add_f64 v[28:29], v[54:55], -v[50:51]
	v_add_f64 v[30:31], v[58:59], -v[206:207]
	v_add_f64 v[208:209], v[24:25], v[228:229]
	v_add_f64 v[24:25], v[218:219], v[226:227]
	v_fmac_f64_e32 v[220:221], v[18:19], v[84:85]
	v_add_f64 v[28:29], v[28:29], v[30:31]
	v_fma_f64 v[204:205], -0.5, v[24:25], v[172:173]
	v_add_f64 v[24:25], v[22:23], -v[224:225]
	v_fmac_f64_e32 v[202:203], s[10:11], v[28:29]
	v_fmac_f64_e32 v[178:179], s[10:11], v[28:29]
	v_fma_f64 v[212:213], s[8:9], v[24:25], v[204:205]
	v_add_f64 v[26:27], v[220:221], -v[222:223]
	v_add_f64 v[28:29], v[214:215], -v[218:219]
	;; [unrolled: 1-line block ×3, first 2 shown]
	v_fmac_f64_e32 v[204:205], s[14:15], v[24:25]
	v_fmac_f64_e32 v[212:213], s[2:3], v[26:27]
	v_add_f64 v[28:29], v[28:29], v[30:31]
	v_fmac_f64_e32 v[204:205], s[16:17], v[26:27]
	v_fmac_f64_e32 v[212:213], s[10:11], v[28:29]
	;; [unrolled: 1-line block ×3, first 2 shown]
	v_add_f64 v[28:29], v[214:215], v[228:229]
	v_fmac_f64_e32 v[172:173], -0.5, v[28:29]
	v_fma_f64 v[216:217], s[14:15], v[26:27], v[172:173]
	v_fmac_f64_e32 v[172:173], s[8:9], v[26:27]
	v_fmac_f64_e32 v[216:217], s[2:3], v[24:25]
	;; [unrolled: 1-line block ×3, first 2 shown]
	v_add_f64 v[24:25], v[174:175], v[22:23]
	v_add_f64 v[24:25], v[24:25], v[220:221]
	;; [unrolled: 1-line block ×3, first 2 shown]
	v_fmac_f64_e32 v[156:157], v[210:211], v[112:113]
	v_add_f64 v[28:29], v[218:219], -v[214:215]
	v_add_f64 v[30:31], v[226:227], -v[228:229]
	v_add_f64 v[210:211], v[24:25], v[224:225]
	v_add_f64 v[24:25], v[220:221], v[222:223]
	;; [unrolled: 1-line block ×3, first 2 shown]
	v_fma_f64 v[206:207], -0.5, v[24:25], v[174:175]
	v_add_f64 v[24:25], v[214:215], -v[228:229]
	v_fmac_f64_e32 v[216:217], s[10:11], v[28:29]
	v_fmac_f64_e32 v[172:173], s[10:11], v[28:29]
	v_fma_f64 v[214:215], s[14:15], v[24:25], v[206:207]
	v_add_f64 v[26:27], v[218:219], -v[226:227]
	v_add_f64 v[28:29], v[22:23], -v[220:221]
	;; [unrolled: 1-line block ×3, first 2 shown]
	v_fmac_f64_e32 v[206:207], s[8:9], v[24:25]
	v_fmac_f64_e32 v[214:215], s[16:17], v[26:27]
	v_add_f64 v[28:29], v[28:29], v[30:31]
	v_fmac_f64_e32 v[206:207], s[2:3], v[26:27]
	v_fmac_f64_e32 v[214:215], s[10:11], v[28:29]
	;; [unrolled: 1-line block ×3, first 2 shown]
	v_add_f64 v[28:29], v[22:23], v[224:225]
	v_fmac_f64_e32 v[174:175], -0.5, v[28:29]
	v_fma_f64 v[218:219], s[8:9], v[26:27], v[174:175]
	v_add_f64 v[22:23], v[220:221], -v[22:23]
	v_add_f64 v[28:29], v[222:223], -v[224:225]
	v_fmac_f64_e32 v[174:175], s[14:15], v[26:27]
	v_fmac_f64_e32 v[218:219], s[16:17], v[24:25]
	v_add_f64 v[22:23], v[22:23], v[28:29]
	v_fmac_f64_e32 v[174:175], s[2:3], v[24:25]
	v_fmac_f64_e32 v[218:219], s[10:11], v[22:23]
	;; [unrolled: 1-line block ×3, first 2 shown]
	v_add_f64 v[22:23], v[184:185], v[230:231]
	v_add_f64 v[22:23], v[22:23], v[234:235]
	;; [unrolled: 1-line block ×5, first 2 shown]
	v_fma_f64 v[220:221], -0.5, v[22:23], v[184:185]
	v_add_f64 v[22:23], v[236:237], -v[242:243]
	v_fma_f64 v[228:229], s[8:9], v[22:23], v[220:221]
	v_add_f64 v[24:25], v[238:239], -v[240:241]
	v_add_f64 v[26:27], v[230:231], -v[234:235]
	;; [unrolled: 1-line block ×3, first 2 shown]
	v_fmac_f64_e32 v[220:221], s[14:15], v[22:23]
	v_fmac_f64_e32 v[228:229], s[2:3], v[24:25]
	v_add_f64 v[26:27], v[26:27], v[28:29]
	v_fmac_f64_e32 v[220:221], s[16:17], v[24:25]
	v_fmac_f64_e32 v[228:229], s[10:11], v[26:27]
	;; [unrolled: 1-line block ×3, first 2 shown]
	v_add_f64 v[26:27], v[230:231], v[20:21]
	v_fmac_f64_e32 v[184:185], -0.5, v[26:27]
	v_fma_f64 v[232:233], s[14:15], v[24:25], v[184:185]
	v_fmac_f64_e32 v[184:185], s[8:9], v[24:25]
	v_fmac_f64_e32 v[232:233], s[2:3], v[22:23]
	v_fmac_f64_e32 v[184:185], s[16:17], v[22:23]
	v_add_f64 v[22:23], v[186:187], v[236:237]
	v_add_f64 v[22:23], v[22:23], v[238:239]
	;; [unrolled: 1-line block ×3, first 2 shown]
	v_add_f64 v[26:27], v[234:235], -v[230:231]
	v_add_f64 v[28:29], v[244:245], -v[20:21]
	v_add_f64 v[226:227], v[22:23], v[242:243]
	v_add_f64 v[22:23], v[238:239], v[240:241]
	;; [unrolled: 1-line block ×3, first 2 shown]
	v_fma_f64 v[222:223], -0.5, v[22:23], v[186:187]
	v_add_f64 v[20:21], v[230:231], -v[20:21]
	v_fmac_f64_e32 v[232:233], s[10:11], v[26:27]
	v_fmac_f64_e32 v[184:185], s[10:11], v[26:27]
	v_fma_f64 v[230:231], s[14:15], v[20:21], v[222:223]
	v_add_f64 v[22:23], v[234:235], -v[244:245]
	v_add_f64 v[24:25], v[236:237], -v[238:239]
	;; [unrolled: 1-line block ×3, first 2 shown]
	v_fmac_f64_e32 v[222:223], s[8:9], v[20:21]
	v_fmac_f64_e32 v[230:231], s[16:17], v[22:23]
	v_add_f64 v[24:25], v[24:25], v[26:27]
	v_fmac_f64_e32 v[222:223], s[2:3], v[22:23]
	v_fmac_f64_e32 v[230:231], s[10:11], v[24:25]
	;; [unrolled: 1-line block ×3, first 2 shown]
	v_add_f64 v[24:25], v[236:237], v[242:243]
	v_fmac_f64_e32 v[186:187], -0.5, v[24:25]
	v_fma_f64 v[234:235], s[8:9], v[22:23], v[186:187]
	v_fmac_f64_e32 v[186:187], s[14:15], v[22:23]
	v_fmac_f64_e32 v[234:235], s[16:17], v[20:21]
	;; [unrolled: 1-line block ×3, first 2 shown]
	v_add_f64 v[20:21], v[180:181], v[164:165]
	v_add_f64 v[20:21], v[20:21], v[168:169]
	v_mul_f64 v[162:163], v[40:41], v[122:123]
	v_add_f64 v[20:21], v[20:21], v[170:171]
	v_mul_f64 v[160:161], v[32:33], v[118:119]
	v_fmac_f64_e32 v[162:163], v[42:43], v[120:121]
	v_add_f64 v[24:25], v[238:239], -v[236:237]
	v_add_f64 v[26:27], v[240:241], -v[242:243]
	v_add_f64 v[240:241], v[20:21], v[246:247]
	v_add_f64 v[20:21], v[168:169], v[170:171]
	v_fmac_f64_e32 v[160:161], v[34:35], v[116:117]
	v_add_f64 v[24:25], v[24:25], v[26:27]
	v_fma_f64 v[236:237], -0.5, v[20:21], v[180:181]
	v_add_f64 v[22:23], v[156:157], -v[162:163]
	v_fmac_f64_e32 v[234:235], s[10:11], v[24:25]
	v_fmac_f64_e32 v[186:187], s[10:11], v[24:25]
	v_fma_f64 v[244:245], s[8:9], v[22:23], v[236:237]
	v_add_f64 v[24:25], v[158:159], -v[160:161]
	v_add_f64 v[20:21], v[164:165], -v[168:169]
	;; [unrolled: 1-line block ×3, first 2 shown]
	v_fmac_f64_e32 v[236:237], s[14:15], v[22:23]
	v_fmac_f64_e32 v[244:245], s[2:3], v[24:25]
	v_add_f64 v[20:21], v[20:21], v[26:27]
	v_fmac_f64_e32 v[236:237], s[16:17], v[24:25]
	v_fmac_f64_e32 v[244:245], s[10:11], v[20:21]
	;; [unrolled: 1-line block ×3, first 2 shown]
	v_add_f64 v[20:21], v[164:165], v[246:247]
	v_fmac_f64_e32 v[180:181], -0.5, v[20:21]
	v_fma_f64 v[20:21], s[14:15], v[24:25], v[180:181]
	v_fmac_f64_e32 v[180:181], s[8:9], v[24:25]
	v_fmac_f64_e32 v[20:21], s[2:3], v[22:23]
	;; [unrolled: 1-line block ×3, first 2 shown]
	v_add_f64 v[22:23], v[182:183], v[156:157]
	v_add_f64 v[22:23], v[22:23], v[158:159]
	;; [unrolled: 1-line block ×3, first 2 shown]
	v_add_f64 v[26:27], v[168:169], -v[164:165]
	v_add_f64 v[28:29], v[170:171], -v[246:247]
	v_add_f64 v[242:243], v[22:23], v[162:163]
	v_add_f64 v[22:23], v[158:159], v[160:161]
	;; [unrolled: 1-line block ×3, first 2 shown]
	v_fma_f64 v[238:239], -0.5, v[22:23], v[182:183]
	v_add_f64 v[24:25], v[164:165], -v[246:247]
	v_fmac_f64_e32 v[20:21], s[10:11], v[26:27]
	v_fmac_f64_e32 v[180:181], s[10:11], v[26:27]
	v_fma_f64 v[246:247], s[14:15], v[24:25], v[238:239]
	v_add_f64 v[26:27], v[168:169], -v[170:171]
	v_add_f64 v[22:23], v[156:157], -v[158:159]
	;; [unrolled: 1-line block ×3, first 2 shown]
	v_fmac_f64_e32 v[238:239], s[8:9], v[24:25]
	v_fmac_f64_e32 v[246:247], s[16:17], v[26:27]
	v_add_f64 v[22:23], v[22:23], v[28:29]
	v_fmac_f64_e32 v[238:239], s[2:3], v[26:27]
	v_fmac_f64_e32 v[246:247], s[10:11], v[22:23]
	;; [unrolled: 1-line block ×3, first 2 shown]
	v_add_f64 v[22:23], v[156:157], v[162:163]
	v_fmac_f64_e32 v[182:183], -0.5, v[22:23]
	v_fma_f64 v[22:23], s[8:9], v[26:27], v[182:183]
	v_fmac_f64_e32 v[182:183], s[14:15], v[26:27]
	v_mul_f64 v[2:3], v[38:39], v[134:135]
	v_fmac_f64_e32 v[22:23], s[16:17], v[24:25]
	v_fmac_f64_e32 v[182:183], s[2:3], v[24:25]
	v_add_f64 v[24:25], v[152:153], v[6:7]
	v_fma_f64 v[16:17], v[36:37], v[132:133], -v[2:3]
	s_waitcnt vmcnt(0) lgkmcnt(0)
	v_mul_f64 v[4:5], v[46:47], v[138:139]
	v_add_f64 v[24:25], v[24:25], v[166:167]
	v_fma_f64 v[18:19], v[44:45], v[136:137], -v[4:5]
	v_mul_f64 v[4:5], v[44:45], v[138:139]
	v_add_f64 v[24:25], v[24:25], v[16:17]
	v_mul_f64 v[2:3], v[36:37], v[134:135]
	v_fmac_f64_e32 v[4:5], v[46:47], v[136:137]
	v_add_f64 v[28:29], v[158:159], -v[156:157]
	v_add_f64 v[30:31], v[160:161], -v[162:163]
	v_add_f64 v[160:161], v[24:25], v[18:19]
	v_add_f64 v[24:25], v[166:167], v[16:17]
	v_fmac_f64_e32 v[2:3], v[38:39], v[132:133]
	v_add_f64 v[28:29], v[28:29], v[30:31]
	v_fma_f64 v[168:169], -0.5, v[24:25], v[152:153]
	v_add_f64 v[24:25], v[250:251], -v[4:5]
	v_fmac_f64_e32 v[22:23], s[10:11], v[28:29]
	v_fmac_f64_e32 v[182:183], s[10:11], v[28:29]
	v_fma_f64 v[156:157], s[8:9], v[24:25], v[168:169]
	v_add_f64 v[26:27], v[0:1], -v[2:3]
	v_add_f64 v[28:29], v[6:7], -v[166:167]
	;; [unrolled: 1-line block ×3, first 2 shown]
	v_fmac_f64_e32 v[168:169], s[14:15], v[24:25]
	v_fmac_f64_e32 v[156:157], s[2:3], v[26:27]
	v_add_f64 v[28:29], v[28:29], v[30:31]
	v_fmac_f64_e32 v[168:169], s[16:17], v[26:27]
	v_fmac_f64_e32 v[156:157], s[10:11], v[28:29]
	;; [unrolled: 1-line block ×3, first 2 shown]
	v_add_f64 v[28:29], v[6:7], v[18:19]
	v_fmac_f64_e32 v[152:153], -0.5, v[28:29]
	v_fma_f64 v[164:165], s[14:15], v[26:27], v[152:153]
	v_fmac_f64_e32 v[152:153], s[8:9], v[26:27]
	v_fmac_f64_e32 v[164:165], s[2:3], v[24:25]
	v_fmac_f64_e32 v[152:153], s[16:17], v[24:25]
	v_add_f64 v[24:25], v[154:155], v[250:251]
	v_add_f64 v[24:25], v[24:25], v[0:1]
	;; [unrolled: 1-line block ×5, first 2 shown]
	v_add_f64 v[28:29], v[166:167], -v[6:7]
	v_fma_f64 v[170:171], -0.5, v[24:25], v[154:155]
	v_add_f64 v[6:7], v[6:7], -v[18:19]
	v_add_f64 v[30:31], v[16:17], -v[18:19]
	v_fma_f64 v[158:159], s[14:15], v[6:7], v[170:171]
	v_add_f64 v[16:17], v[166:167], -v[16:17]
	v_add_f64 v[18:19], v[250:251], -v[0:1]
	;; [unrolled: 1-line block ×3, first 2 shown]
	v_fmac_f64_e32 v[170:171], s[8:9], v[6:7]
	v_fmac_f64_e32 v[158:159], s[16:17], v[16:17]
	v_add_f64 v[18:19], v[18:19], v[24:25]
	v_fmac_f64_e32 v[170:171], s[2:3], v[16:17]
	v_fmac_f64_e32 v[158:159], s[10:11], v[18:19]
	;; [unrolled: 1-line block ×3, first 2 shown]
	v_add_f64 v[18:19], v[250:251], v[4:5]
	v_fmac_f64_e32 v[154:155], -0.5, v[18:19]
	v_fma_f64 v[166:167], s[8:9], v[16:17], v[154:155]
	v_add_f64 v[0:1], v[0:1], -v[250:251]
	v_add_f64 v[2:3], v[2:3], -v[4:5]
	v_fmac_f64_e32 v[154:155], s[14:15], v[16:17]
	v_add_f64 v[28:29], v[28:29], v[30:31]
	v_fmac_f64_e32 v[166:167], s[16:17], v[6:7]
	v_add_f64 v[0:1], v[0:1], v[2:3]
	v_fmac_f64_e32 v[154:155], s[2:3], v[6:7]
	v_fmac_f64_e32 v[164:165], s[10:11], v[28:29]
	;; [unrolled: 1-line block ×5, first 2 shown]
	s_mov_b32 s10, 0x8000
	v_add_co_u32_e64 v0, s[2:3], s10, v248
	ds_write_b128 v254, v[192:195]
	ds_write_b128 v254, v[196:199] offset:7200
	ds_write_b128 v254, v[200:203] offset:14400
	;; [unrolled: 1-line block ×24, first 2 shown]
	v_addc_co_u32_e64 v1, s[2:3], 0, v249, s[2:3]
	s_mov_b64 s[2:3], 0x8ca0
	s_nop 0
	v_lshl_add_u64 v[220:221], v[248:249], 0, s[2:3]
	s_waitcnt lgkmcnt(0)
	s_barrier
	global_load_dwordx4 v[176:179], v[220:221], off offset:3600
	s_mov_b32 s2, 0xa000
	global_load_dwordx4 v[172:175], v[0:1], off offset:3232
	v_add_co_u32_e64 v222, s[2:3], s2, v248
	s_nop 1
	v_addc_co_u32_e64 v223, s[2:3], 0, v249, s[2:3]
	global_load_dwordx4 v[180:183], v[222:223], off offset:2240
	s_mov_b32 s2, 0xb000
	v_add_co_u32_e64 v224, s[2:3], s2, v248
	s_nop 1
	v_addc_co_u32_e64 v225, s[2:3], 0, v249, s[2:3]
	global_load_dwordx4 v[184:187], v[224:225], off offset:1744
	s_mov_b32 s2, 0xc000
	;; [unrolled: 5-line block ×4, first 2 shown]
	v_add_co_u32_e64 v2, s[2:3], s2, v248
	s_nop 1
	v_addc_co_u32_e64 v3, s[2:3], 0, v249, s[2:3]
	global_load_dwordx4 v[196:199], v[2:3], off offset:256
	global_load_dwordx4 v[200:203], v[2:3], off offset:3856
	s_mov_b32 s2, 0xf000
	v_add_co_u32_e64 v4, s[2:3], s2, v248
	ds_read_b128 v[212:215], v254
	s_nop 0
	v_addc_co_u32_e64 v5, s[2:3], 0, v249, s[2:3]
	s_mov_b32 s2, 0x10000
	s_nop 0
	v_add_co_u32_e64 v6, s[2:3], s2, v248
	global_load_dwordx4 v[204:207], v[4:5], off offset:3360
	s_nop 0
	v_addc_co_u32_e64 v7, s[2:3], 0, v249, s[2:3]
	global_load_dwordx4 v[208:211], v[6:7], off offset:2864
	global_load_dwordx4 v[216:219], v[222:223], off offset:80
	ds_read_b128 v[28:31], v254 offset:3600
	ds_read_b128 v[36:39], v254 offset:7200
	global_load_dwordx4 v[24:27], v[220:221], off offset:1440
	global_load_dwordx4 v[40:43], v[222:223], off offset:3680
	s_mov_b32 s2, 0x11000
	ds_read_b128 v[16:19], v254 offset:33840
	s_waitcnt vmcnt(12) lgkmcnt(2)
	v_mul_f64 v[32:33], v[30:31], v[178:179]
	v_mul_f64 v[34:35], v[28:29], v[178:179]
	s_waitcnt vmcnt(11)
	v_mul_f64 v[20:21], v[214:215], v[174:175]
	v_mul_f64 v[22:23], v[212:213], v[174:175]
	v_fma_f64 v[32:33], v[28:29], v[176:177], -v[32:33]
	v_fmac_f64_e32 v[34:35], v[30:31], v[176:177]
	v_fma_f64 v[20:21], v[212:213], v[172:173], -v[20:21]
	v_fmac_f64_e32 v[22:23], v[214:215], v[172:173]
	ds_write_b128 v254, v[32:35] offset:3600
	global_load_dwordx4 v[32:35], v[224:225], off offset:3184
	ds_read_b128 v[172:175], v254 offset:10800
	ds_read_b128 v[212:215], v254 offset:14400
	s_waitcnt vmcnt(11) lgkmcnt(4)
	v_mul_f64 v[44:45], v[38:39], v[182:183]
	v_mul_f64 v[46:47], v[36:37], v[182:183]
	v_fma_f64 v[44:45], v[36:37], v[180:181], -v[44:45]
	v_fmac_f64_e32 v[46:47], v[38:39], v[180:181]
	global_load_dwordx4 v[36:39], v[226:227], off offset:2688
	global_load_dwordx4 v[180:183], v[0:1], off offset:2192
	s_waitcnt vmcnt(12) lgkmcnt(1)
	v_mul_f64 v[48:49], v[174:175], v[186:187]
	v_mul_f64 v[178:179], v[172:173], v[186:187]
	v_fma_f64 v[176:177], v[172:173], v[184:185], -v[48:49]
	v_fmac_f64_e32 v[178:179], v[174:175], v[184:185]
	global_load_dwordx4 v[184:187], v[4:5], off offset:1200
	s_waitcnt vmcnt(12) lgkmcnt(0)
	v_mul_f64 v[48:49], v[214:215], v[190:191]
	global_load_dwordx4 v[0:3], v[2:3], off offset:1696
	ds_write_b128 v254, v[176:179] offset:10800
	global_load_dwordx4 v[4:7], v[6:7], off offset:704
	v_fma_f64 v[176:177], v[212:213], v[188:189], -v[48:49]
	v_add_co_u32_e64 v48, s[2:3], s2, v248
	v_mul_f64 v[178:179], v[212:213], v[190:191]
	s_nop 0
	v_addc_co_u32_e64 v49, s[2:3], 0, v249, s[2:3]
	v_fmac_f64_e32 v[178:179], v[214:215], v[188:189]
	global_load_dwordx4 v[188:191], v[48:49], off offset:208
	ds_write_b128 v254, v[176:179] offset:14400
	ds_read_b128 v[176:179], v254 offset:18000
	ds_read_b128 v[226:229], v254 offset:21600
	ds_write_b128 v254, v[20:23]
	ds_read_b128 v[20:23], v254 offset:1440
	ds_read_b128 v[28:31], v254 offset:5040
	s_waitcnt vmcnt(14) lgkmcnt(4)
	v_mul_f64 v[48:49], v[178:179], v[194:195]
	v_mul_f64 v[224:225], v[176:177], v[194:195]
	v_fma_f64 v[222:223], v[176:177], v[192:193], -v[48:49]
	v_fmac_f64_e32 v[224:225], v[178:179], v[192:193]
	ds_write_b128 v254, v[222:225] offset:18000
	ds_read_b128 v[222:225], v254 offset:25200
	s_waitcnt vmcnt(13) lgkmcnt(5)
	v_mul_f64 v[48:49], v[228:229], v[198:199]
	v_mul_f64 v[194:195], v[226:227], v[198:199]
	v_fma_f64 v[192:193], v[226:227], v[196:197], -v[48:49]
	v_fmac_f64_e32 v[194:195], v[228:229], v[196:197]
	ds_read_b128 v[226:229], v254 offset:28800
	s_waitcnt vmcnt(12) lgkmcnt(1)
	v_mul_f64 v[48:49], v[224:225], v[202:203]
	v_mul_f64 v[198:199], v[222:223], v[202:203]
	v_fma_f64 v[196:197], v[222:223], v[200:201], -v[48:49]
	v_fmac_f64_e32 v[198:199], v[224:225], v[200:201]
	ds_read_b128 v[222:225], v254 offset:32400
	s_waitcnt vmcnt(11) lgkmcnt(1)
	v_mul_f64 v[48:49], v[228:229], v[206:207]
	ds_write_b128 v254, v[44:47] offset:7200
	ds_read_b128 v[44:47], v254 offset:8640
	v_fma_f64 v[200:201], v[226:227], v[204:205], -v[48:49]
	v_mul_f64 v[202:203], v[226:227], v[206:207]
	s_waitcnt vmcnt(10) lgkmcnt(2)
	v_mul_f64 v[48:49], v[224:225], v[210:211]
	v_mul_f64 v[206:207], v[222:223], v[210:211]
	v_fmac_f64_e32 v[202:203], v[228:229], v[204:205]
	v_fma_f64 v[204:205], v[222:223], v[208:209], -v[48:49]
	v_fmac_f64_e32 v[206:207], v[224:225], v[208:209]
	ds_read_b128 v[172:175], v254 offset:12240
	ds_read_b128 v[212:215], v254 offset:15840
	ds_write_b128 v254, v[204:207] offset:32400
	s_waitcnt vmcnt(8)
	v_mul_f64 v[48:49], v[22:23], v[26:27]
	v_mul_f64 v[206:207], v[20:21], v[26:27]
	v_fma_f64 v[204:205], v[20:21], v[24:25], -v[48:49]
	v_fmac_f64_e32 v[206:207], v[22:23], v[24:25]
	v_mul_f64 v[20:21], v[30:31], v[218:219]
	v_mul_f64 v[22:23], v[28:29], v[218:219]
	v_fma_f64 v[20:21], v[28:29], v[216:217], -v[20:21]
	v_fmac_f64_e32 v[22:23], v[30:31], v[216:217]
	ds_write_b128 v254, v[20:23] offset:5040
	s_waitcnt vmcnt(7) lgkmcnt(4)
	v_mul_f64 v[20:21], v[46:47], v[42:43]
	v_mul_f64 v[22:23], v[44:45], v[42:43]
	ds_read_b128 v[176:179], v254 offset:19440
	v_fma_f64 v[20:21], v[44:45], v[40:41], -v[20:21]
	v_fmac_f64_e32 v[22:23], v[46:47], v[40:41]
	ds_write_b128 v254, v[20:23] offset:8640
	ds_write_b128 v254, v[192:195] offset:21600
	ds_read_b128 v[192:195], v254 offset:23040
	ds_write_b128 v254, v[196:199] offset:25200
	ds_read_b128 v[196:199], v254 offset:26640
	s_waitcnt vmcnt(6) lgkmcnt(9)
	v_mul_f64 v[20:21], v[174:175], v[34:35]
	v_mul_f64 v[22:23], v[172:173], v[34:35]
	v_fma_f64 v[20:21], v[172:173], v[32:33], -v[20:21]
	v_fmac_f64_e32 v[22:23], v[174:175], v[32:33]
	ds_write_b128 v254, v[20:23] offset:12240
	ds_write_b128 v254, v[200:203] offset:28800
	ds_read_b128 v[200:203], v254 offset:30240
	s_waitcnt vmcnt(5) lgkmcnt(11)
	v_mul_f64 v[20:21], v[214:215], v[38:39]
	v_mul_f64 v[22:23], v[212:213], v[38:39]
	v_fma_f64 v[20:21], v[212:213], v[36:37], -v[20:21]
	v_fmac_f64_e32 v[22:23], v[214:215], v[36:37]
	ds_write_b128 v254, v[20:23] offset:15840
	s_waitcnt vmcnt(4) lgkmcnt(9)
	v_mul_f64 v[20:21], v[178:179], v[182:183]
	v_mul_f64 v[22:23], v[176:177], v[182:183]
	v_fma_f64 v[20:21], v[176:177], v[180:181], -v[20:21]
	v_fmac_f64_e32 v[22:23], v[178:179], v[180:181]
	ds_write_b128 v254, v[20:23] offset:19440
	s_waitcnt vmcnt(2) lgkmcnt(7)
	v_mul_f64 v[20:21], v[194:195], v[2:3]
	v_mul_f64 v[22:23], v[192:193], v[2:3]
	v_fma_f64 v[20:21], v[192:193], v[0:1], -v[20:21]
	v_fmac_f64_e32 v[22:23], v[194:195], v[0:1]
	s_waitcnt lgkmcnt(5)
	v_mul_f64 v[0:1], v[198:199], v[186:187]
	v_mul_f64 v[2:3], v[196:197], v[186:187]
	v_fma_f64 v[0:1], v[196:197], v[184:185], -v[0:1]
	v_fmac_f64_e32 v[2:3], v[198:199], v[184:185]
	ds_write_b128 v254, v[0:3] offset:26640
	s_waitcnt vmcnt(1) lgkmcnt(3)
	v_mul_f64 v[0:1], v[202:203], v[6:7]
	v_mul_f64 v[2:3], v[200:201], v[6:7]
	v_fma_f64 v[0:1], v[200:201], v[4:5], -v[0:1]
	v_fmac_f64_e32 v[2:3], v[202:203], v[4:5]
	ds_write_b128 v254, v[0:3] offset:30240
	s_waitcnt vmcnt(0)
	v_mul_f64 v[0:1], v[18:19], v[190:191]
	v_mul_f64 v[2:3], v[16:17], v[190:191]
	v_fma_f64 v[0:1], v[16:17], v[188:189], -v[0:1]
	v_fmac_f64_e32 v[2:3], v[18:19], v[188:189]
	ds_write_b128 v254, v[204:207] offset:1440
	ds_write_b128 v254, v[20:23] offset:23040
	;; [unrolled: 1-line block ×3, first 2 shown]
	s_and_saveexec_b64 s[8:9], vcc
	s_cbranch_execz .LBB0_17
; %bb.16:
	global_load_dwordx4 v[4:7], v[220:221], off offset:2880
	ds_read_b128 v[0:3], v254 offset:2880
	s_waitcnt vmcnt(0) lgkmcnt(0)
	v_mul_f64 v[16:17], v[2:3], v[6:7]
	v_mul_f64 v[18:19], v[0:1], v[6:7]
	v_fma_f64 v[16:17], v[0:1], v[4:5], -v[16:17]
	v_fmac_f64_e32 v[18:19], v[2:3], v[4:5]
	v_add_co_u32_e64 v4, s[2:3], s18, v220
	ds_read_b128 v[0:3], v254 offset:6480
	s_nop 0
	v_addc_co_u32_e64 v5, s[2:3], 0, v221, s[2:3]
	global_load_dwordx4 v[4:7], v[4:5], off offset:2384
	ds_write_b128 v254, v[16:19] offset:2880
	s_movk_i32 s2, 0x2000
	s_waitcnt vmcnt(0) lgkmcnt(1)
	v_mul_f64 v[16:17], v[2:3], v[6:7]
	v_mul_f64 v[18:19], v[0:1], v[6:7]
	v_fma_f64 v[16:17], v[0:1], v[4:5], -v[16:17]
	v_fmac_f64_e32 v[18:19], v[2:3], v[4:5]
	v_add_co_u32_e64 v4, s[2:3], s2, v220
	ds_read_b128 v[0:3], v254 offset:10080
	s_nop 0
	v_addc_co_u32_e64 v5, s[2:3], 0, v221, s[2:3]
	global_load_dwordx4 v[4:7], v[4:5], off offset:1888
	ds_write_b128 v254, v[16:19] offset:6480
	s_movk_i32 s2, 0x3000
	;; [unrolled: 12-line block ×3, first 2 shown]
	s_waitcnt vmcnt(0) lgkmcnt(1)
	v_mul_f64 v[16:17], v[2:3], v[6:7]
	v_mul_f64 v[18:19], v[0:1], v[6:7]
	v_fma_f64 v[16:17], v[0:1], v[4:5], -v[16:17]
	v_fmac_f64_e32 v[18:19], v[2:3], v[4:5]
	v_add_co_u32_e64 v4, s[2:3], s2, v220
	ds_read_b128 v[0:3], v254 offset:17280
	s_nop 0
	v_addc_co_u32_e64 v5, s[2:3], 0, v221, s[2:3]
	global_load_dwordx4 v[4:7], v[4:5], off offset:896
	s_movk_i32 s2, 0x5000
	v_add_co_u32_e64 v20, s[2:3], s2, v220
	ds_write_b128 v254, v[16:19] offset:13680
	s_nop 0
	v_addc_co_u32_e64 v21, s[2:3], 0, v221, s[2:3]
	s_movk_i32 s2, 0x6000
	s_waitcnt vmcnt(0) lgkmcnt(1)
	v_mul_f64 v[16:17], v[2:3], v[6:7]
	v_mul_f64 v[18:19], v[0:1], v[6:7]
	v_fma_f64 v[16:17], v[0:1], v[4:5], -v[16:17]
	v_fmac_f64_e32 v[18:19], v[2:3], v[4:5]
	global_load_dwordx4 v[4:7], v[20:21], off offset:400
	ds_read_b128 v[0:3], v254 offset:20880
	ds_write_b128 v254, v[16:19] offset:17280
	s_waitcnt vmcnt(0) lgkmcnt(1)
	v_mul_f64 v[16:17], v[2:3], v[6:7]
	v_mul_f64 v[18:19], v[0:1], v[6:7]
	v_fma_f64 v[16:17], v[0:1], v[4:5], -v[16:17]
	v_fmac_f64_e32 v[18:19], v[2:3], v[4:5]
	global_load_dwordx4 v[4:7], v[20:21], off offset:4000
	ds_read_b128 v[0:3], v254 offset:24480
	ds_write_b128 v254, v[16:19] offset:20880
	s_waitcnt vmcnt(0) lgkmcnt(1)
	v_mul_f64 v[16:17], v[2:3], v[6:7]
	v_mul_f64 v[18:19], v[0:1], v[6:7]
	v_fma_f64 v[16:17], v[0:1], v[4:5], -v[16:17]
	v_fmac_f64_e32 v[18:19], v[2:3], v[4:5]
	v_add_co_u32_e64 v4, s[2:3], s2, v220
	ds_read_b128 v[0:3], v254 offset:28080
	s_nop 0
	v_addc_co_u32_e64 v5, s[2:3], 0, v221, s[2:3]
	global_load_dwordx4 v[4:7], v[4:5], off offset:3504
	ds_write_b128 v254, v[16:19] offset:24480
	s_movk_i32 s2, 0x7000
	s_waitcnt vmcnt(0) lgkmcnt(1)
	v_mul_f64 v[16:17], v[2:3], v[6:7]
	v_mul_f64 v[18:19], v[0:1], v[6:7]
	v_fma_f64 v[16:17], v[0:1], v[4:5], -v[16:17]
	v_fmac_f64_e32 v[18:19], v[2:3], v[4:5]
	v_add_co_u32_e64 v4, s[2:3], s2, v220
	ds_read_b128 v[0:3], v254 offset:31680
	s_nop 0
	v_addc_co_u32_e64 v5, s[2:3], 0, v221, s[2:3]
	global_load_dwordx4 v[4:7], v[4:5], off offset:3008
	ds_write_b128 v254, v[16:19] offset:28080
	s_waitcnt vmcnt(0) lgkmcnt(1)
	v_mul_f64 v[16:17], v[2:3], v[6:7]
	v_mul_f64 v[18:19], v[0:1], v[6:7]
	v_fma_f64 v[16:17], v[0:1], v[4:5], -v[16:17]
	v_fmac_f64_e32 v[18:19], v[2:3], v[4:5]
	v_add_co_u32_e64 v4, s[2:3], s10, v220
	ds_read_b128 v[0:3], v254 offset:35280
	s_nop 0
	v_addc_co_u32_e64 v5, s[2:3], 0, v221, s[2:3]
	global_load_dwordx4 v[4:7], v[4:5], off offset:2512
	ds_write_b128 v254, v[16:19] offset:31680
	s_waitcnt vmcnt(0) lgkmcnt(1)
	v_mul_f64 v[16:17], v[2:3], v[6:7]
	v_mul_f64 v[18:19], v[0:1], v[6:7]
	v_fma_f64 v[16:17], v[0:1], v[4:5], -v[16:17]
	v_fmac_f64_e32 v[18:19], v[2:3], v[4:5]
	ds_write_b128 v254, v[16:19] offset:35280
.LBB0_17:
	s_or_b64 exec, exec, s[8:9]
	s_waitcnt lgkmcnt(0)
	s_barrier
	ds_read_b128 v[216:219], v254 offset:3600
	ds_read_b128 v[172:175], v254 offset:1440
	;; [unrolled: 1-line block ×18, first 2 shown]
	ds_read_b128 v[212:215], v254
	ds_read_b128 v[192:195], v254 offset:33840
	s_and_saveexec_b64 s[2:3], vcc
	s_cbranch_execz .LBB0_19
; %bb.18:
	ds_read_b128 v[156:159], v254 offset:6480
	ds_read_b128 v[164:167], v254 offset:10080
	;; [unrolled: 1-line block ×10, first 2 shown]
.LBB0_19:
	s_or_b64 exec, exec, s[2:3]
	s_waitcnt lgkmcnt(9)
	v_add_f64 v[2:3], v[240:241], v[244:245]
	s_mov_b32 s2, 0x134454ff
	s_waitcnt lgkmcnt(1)
	v_fma_f64 v[2:3], -0.5, v[2:3], v[212:213]
	v_add_f64 v[4:5], v[238:239], -v[250:251]
	s_mov_b32 s3, 0xbfee6f0e
	s_mov_b32 s8, 0x4755a5e
	s_mov_b32 s15, 0x3fee6f0e
	s_mov_b32 s14, s2
	v_fma_f64 v[6:7], s[2:3], v[4:5], v[2:3]
	v_add_f64 v[16:17], v[242:243], -v[246:247]
	s_mov_b32 s9, 0xbfe2cf23
	v_add_f64 v[18:19], v[236:237], -v[240:241]
	v_add_f64 v[20:21], v[248:249], -v[244:245]
	s_mov_b32 s10, 0x372fe950
	v_fmac_f64_e32 v[2:3], s[14:15], v[4:5]
	s_mov_b32 s17, 0x3fe2cf23
	s_mov_b32 s16, s8
	v_fmac_f64_e32 v[6:7], s[8:9], v[16:17]
	v_add_f64 v[18:19], v[18:19], v[20:21]
	s_mov_b32 s11, 0x3fd3c6ef
	v_fmac_f64_e32 v[2:3], s[16:17], v[16:17]
	v_fmac_f64_e32 v[6:7], s[10:11], v[18:19]
	v_fmac_f64_e32 v[2:3], s[10:11], v[18:19]
	v_add_f64 v[18:19], v[236:237], v[248:249]
	v_add_f64 v[0:1], v[212:213], v[236:237]
	v_fmac_f64_e32 v[212:213], -0.5, v[18:19]
	v_fma_f64 v[18:19], s[14:15], v[16:17], v[212:213]
	v_add_f64 v[20:21], v[240:241], -v[236:237]
	v_add_f64 v[22:23], v[244:245], -v[248:249]
	v_fmac_f64_e32 v[212:213], s[2:3], v[16:17]
	v_fmac_f64_e32 v[18:19], s[8:9], v[4:5]
	v_add_f64 v[20:21], v[20:21], v[22:23]
	v_fmac_f64_e32 v[212:213], s[16:17], v[4:5]
	v_add_f64 v[16:17], v[242:243], v[246:247]
	v_fmac_f64_e32 v[18:19], s[10:11], v[20:21]
	v_fmac_f64_e32 v[212:213], s[10:11], v[20:21]
	v_fma_f64 v[16:17], -0.5, v[16:17], v[214:215]
	v_add_f64 v[20:21], v[236:237], -v[248:249]
	v_fma_f64 v[22:23], s[14:15], v[20:21], v[16:17]
	v_add_f64 v[24:25], v[240:241], -v[244:245]
	v_add_f64 v[26:27], v[238:239], -v[242:243]
	v_add_f64 v[28:29], v[250:251], -v[246:247]
	v_fmac_f64_e32 v[16:17], s[2:3], v[20:21]
	v_fmac_f64_e32 v[22:23], s[16:17], v[24:25]
	v_add_f64 v[26:27], v[26:27], v[28:29]
	v_fmac_f64_e32 v[16:17], s[8:9], v[24:25]
	v_fmac_f64_e32 v[22:23], s[10:11], v[26:27]
	v_fmac_f64_e32 v[16:17], s[10:11], v[26:27]
	v_add_f64 v[26:27], v[238:239], v[250:251]
	v_add_f64 v[4:5], v[214:215], v[238:239]
	v_fmac_f64_e32 v[214:215], -0.5, v[26:27]
	v_fma_f64 v[26:27], s[2:3], v[24:25], v[214:215]
	v_add_f64 v[28:29], v[242:243], -v[238:239]
	v_add_f64 v[30:31], v[246:247], -v[250:251]
	v_fmac_f64_e32 v[214:215], s[14:15], v[24:25]
	v_fmac_f64_e32 v[26:27], s[16:17], v[20:21]
	v_add_f64 v[28:29], v[28:29], v[30:31]
	v_fmac_f64_e32 v[214:215], s[8:9], v[20:21]
	v_add_f64 v[24:25], v[224:225], v[228:229]
	v_fmac_f64_e32 v[26:27], s[10:11], v[28:29]
	v_fmac_f64_e32 v[214:215], s[10:11], v[28:29]
	v_fma_f64 v[24:25], -0.5, v[24:25], v[216:217]
	v_add_f64 v[28:29], v[222:223], -v[234:235]
	v_fma_f64 v[30:31], s[2:3], v[28:29], v[24:25]
	v_add_f64 v[32:33], v[226:227], -v[230:231]
	v_add_f64 v[34:35], v[220:221], -v[224:225]
	v_add_f64 v[36:37], v[232:233], -v[228:229]
	v_fmac_f64_e32 v[24:25], s[14:15], v[28:29]
	v_fmac_f64_e32 v[30:31], s[8:9], v[32:33]
	v_add_f64 v[34:35], v[34:35], v[36:37]
	;; [unrolled: 25-line block ×3, first 2 shown]
	v_fmac_f64_e32 v[32:33], s[8:9], v[40:41]
	v_fmac_f64_e32 v[38:39], s[10:11], v[42:43]
	;; [unrolled: 1-line block ×3, first 2 shown]
	v_add_f64 v[42:43], v[222:223], v[234:235]
	v_add_f64 v[28:29], v[218:219], v[222:223]
	v_fmac_f64_e32 v[218:219], -0.5, v[42:43]
	v_fma_f64 v[42:43], s[2:3], v[40:41], v[218:219]
	v_add_f64 v[44:45], v[226:227], -v[222:223]
	v_add_f64 v[46:47], v[230:231], -v[234:235]
	v_fmac_f64_e32 v[218:219], s[14:15], v[40:41]
	s_mov_b32 s20, 0x9b97f4a8
	v_fmac_f64_e32 v[42:43], s[16:17], v[36:37]
	v_add_f64 v[44:45], v[44:45], v[46:47]
	v_fmac_f64_e32 v[218:219], s[8:9], v[36:37]
	v_mul_f64 v[36:37], v[38:39], s[8:9]
	s_mov_b32 s21, 0x3fe9e377
	v_add_f64 v[0:1], v[0:1], v[240:241]
	v_add_f64 v[4:5], v[4:5], v[242:243]
	;; [unrolled: 1-line block ×4, first 2 shown]
	v_fmac_f64_e32 v[42:43], s[10:11], v[44:45]
	v_fmac_f64_e32 v[36:37], s[20:21], v[30:31]
	v_mul_f64 v[30:31], v[30:31], s[16:17]
	v_add_f64 v[0:1], v[0:1], v[244:245]
	v_add_f64 v[4:5], v[4:5], v[246:247]
	;; [unrolled: 1-line block ×4, first 2 shown]
	v_fmac_f64_e32 v[218:219], s[10:11], v[44:45]
	v_mul_f64 v[40:41], v[42:43], s[2:3]
	s_mov_b32 s19, 0xbfd3c6ef
	s_mov_b32 s18, s10
	;; [unrolled: 1-line block ×4, first 2 shown]
	v_fmac_f64_e32 v[30:31], s[20:21], v[38:39]
	v_mul_f64 v[38:39], v[42:43], s[10:11]
	v_add_f64 v[0:1], v[0:1], v[248:249]
	v_add_f64 v[4:5], v[4:5], v[250:251]
	;; [unrolled: 1-line block ×4, first 2 shown]
	v_fmac_f64_e32 v[40:41], s[10:11], v[34:35]
	v_mul_f64 v[44:45], v[218:219], s[2:3]
	v_mul_f64 v[46:47], v[32:33], s[8:9]
	v_fmac_f64_e32 v[38:39], s[14:15], v[34:35]
	v_mul_f64 v[34:35], v[218:219], s[18:19]
	v_mul_f64 v[32:33], v[32:33], s[22:23]
	v_add_f64 v[220:221], v[0:1], v[20:21]
	v_fmac_f64_e32 v[44:45], s[18:19], v[216:217]
	v_fmac_f64_e32 v[46:47], s[22:23], v[24:25]
	v_add_f64 v[222:223], v[4:5], v[28:29]
	v_fmac_f64_e32 v[34:35], s[14:15], v[216:217]
	v_fmac_f64_e32 v[32:33], s[16:17], v[24:25]
	v_add_f64 v[224:225], v[6:7], v[36:37]
	v_add_f64 v[228:229], v[18:19], v[40:41]
	;; [unrolled: 1-line block ×8, first 2 shown]
	v_add_f64 v[248:249], v[0:1], -v[20:21]
	v_add_f64 v[244:245], v[6:7], -v[36:37]
	;; [unrolled: 1-line block ×10, first 2 shown]
	s_waitcnt lgkmcnt(0)
	s_barrier
	ds_write_b128 v255, v[220:223]
	ds_write_b128 v255, v[224:227] offset:16
	ds_write_b128 v255, v[228:231] offset:32
	;; [unrolled: 1-line block ×9, first 2 shown]
	scratch_load_dword v212, off, off offset:8 ; 4-byte Folded Reload
	v_add_f64 v[2:3], v[200:201], v[204:205]
	v_fma_f64 v[2:3], -0.5, v[2:3], v[172:173]
	v_add_f64 v[4:5], v[198:199], -v[210:211]
	v_fma_f64 v[6:7], s[2:3], v[4:5], v[2:3]
	v_add_f64 v[16:17], v[202:203], -v[206:207]
	v_add_f64 v[18:19], v[196:197], -v[200:201]
	;; [unrolled: 1-line block ×3, first 2 shown]
	v_fmac_f64_e32 v[2:3], s[14:15], v[4:5]
	v_fmac_f64_e32 v[6:7], s[8:9], v[16:17]
	v_add_f64 v[18:19], v[18:19], v[20:21]
	v_fmac_f64_e32 v[2:3], s[16:17], v[16:17]
	v_fmac_f64_e32 v[6:7], s[10:11], v[18:19]
	;; [unrolled: 1-line block ×3, first 2 shown]
	v_add_f64 v[18:19], v[196:197], v[208:209]
	v_add_f64 v[0:1], v[172:173], v[196:197]
	v_fmac_f64_e32 v[172:173], -0.5, v[18:19]
	v_fma_f64 v[18:19], s[14:15], v[16:17], v[172:173]
	v_add_f64 v[20:21], v[200:201], -v[196:197]
	v_add_f64 v[22:23], v[204:205], -v[208:209]
	v_fmac_f64_e32 v[172:173], s[2:3], v[16:17]
	v_fmac_f64_e32 v[18:19], s[8:9], v[4:5]
	v_add_f64 v[20:21], v[20:21], v[22:23]
	v_fmac_f64_e32 v[172:173], s[16:17], v[4:5]
	v_add_f64 v[16:17], v[202:203], v[206:207]
	v_fmac_f64_e32 v[18:19], s[10:11], v[20:21]
	v_fmac_f64_e32 v[172:173], s[10:11], v[20:21]
	v_fma_f64 v[16:17], -0.5, v[16:17], v[174:175]
	v_add_f64 v[20:21], v[196:197], -v[208:209]
	v_fma_f64 v[22:23], s[14:15], v[20:21], v[16:17]
	v_add_f64 v[24:25], v[200:201], -v[204:205]
	v_add_f64 v[26:27], v[198:199], -v[202:203]
	;; [unrolled: 1-line block ×3, first 2 shown]
	v_fmac_f64_e32 v[16:17], s[2:3], v[20:21]
	v_fmac_f64_e32 v[22:23], s[16:17], v[24:25]
	v_add_f64 v[26:27], v[26:27], v[28:29]
	v_fmac_f64_e32 v[16:17], s[8:9], v[24:25]
	v_fmac_f64_e32 v[22:23], s[10:11], v[26:27]
	;; [unrolled: 1-line block ×3, first 2 shown]
	v_add_f64 v[26:27], v[198:199], v[210:211]
	v_add_f64 v[4:5], v[174:175], v[198:199]
	v_fmac_f64_e32 v[174:175], -0.5, v[26:27]
	v_fma_f64 v[50:51], s[2:3], v[24:25], v[174:175]
	v_add_f64 v[26:27], v[202:203], -v[198:199]
	v_add_f64 v[28:29], v[206:207], -v[210:211]
	v_fmac_f64_e32 v[174:175], s[14:15], v[24:25]
	v_add_f64 v[24:25], v[184:185], v[188:189]
	v_fmac_f64_e32 v[50:51], s[16:17], v[20:21]
	v_add_f64 v[26:27], v[26:27], v[28:29]
	v_fmac_f64_e32 v[174:175], s[8:9], v[20:21]
	v_fma_f64 v[42:43], -0.5, v[24:25], v[176:177]
	v_add_f64 v[24:25], v[182:183], -v[194:195]
	v_fmac_f64_e32 v[50:51], s[10:11], v[26:27]
	v_fmac_f64_e32 v[174:175], s[10:11], v[26:27]
	v_fma_f64 v[30:31], s[2:3], v[24:25], v[42:43]
	v_add_f64 v[26:27], v[186:187], -v[190:191]
	v_add_f64 v[28:29], v[180:181], -v[184:185]
	;; [unrolled: 1-line block ×3, first 2 shown]
	v_fmac_f64_e32 v[42:43], s[14:15], v[24:25]
	v_fmac_f64_e32 v[30:31], s[8:9], v[26:27]
	v_add_f64 v[28:29], v[28:29], v[32:33]
	v_fmac_f64_e32 v[42:43], s[16:17], v[26:27]
	v_fmac_f64_e32 v[30:31], s[10:11], v[28:29]
	;; [unrolled: 1-line block ×3, first 2 shown]
	v_add_f64 v[28:29], v[180:181], v[192:193]
	v_add_f64 v[20:21], v[176:177], v[180:181]
	v_fmac_f64_e32 v[176:177], -0.5, v[28:29]
	v_fma_f64 v[34:35], s[14:15], v[26:27], v[176:177]
	v_fmac_f64_e32 v[176:177], s[2:3], v[26:27]
	v_fmac_f64_e32 v[34:35], s[8:9], v[24:25]
	;; [unrolled: 1-line block ×3, first 2 shown]
	v_add_f64 v[24:25], v[178:179], v[182:183]
	v_add_f64 v[24:25], v[24:25], v[186:187]
	v_add_f64 v[24:25], v[24:25], v[190:191]
	v_add_f64 v[28:29], v[184:185], -v[180:181]
	v_add_f64 v[32:33], v[188:189], -v[192:193]
	v_add_f64 v[46:47], v[24:25], v[194:195]
	v_add_f64 v[24:25], v[186:187], v[190:191]
	v_add_f64 v[28:29], v[28:29], v[32:33]
	v_fma_f64 v[44:45], -0.5, v[24:25], v[178:179]
	v_add_f64 v[24:25], v[180:181], -v[192:193]
	v_fmac_f64_e32 v[34:35], s[10:11], v[28:29]
	v_fmac_f64_e32 v[176:177], s[10:11], v[28:29]
	v_fma_f64 v[38:39], s[14:15], v[24:25], v[44:45]
	v_add_f64 v[26:27], v[184:185], -v[188:189]
	v_add_f64 v[28:29], v[182:183], -v[186:187]
	;; [unrolled: 1-line block ×3, first 2 shown]
	v_fmac_f64_e32 v[44:45], s[2:3], v[24:25]
	v_fmac_f64_e32 v[38:39], s[16:17], v[26:27]
	v_add_f64 v[28:29], v[28:29], v[32:33]
	v_fmac_f64_e32 v[44:45], s[8:9], v[26:27]
	v_fmac_f64_e32 v[38:39], s[10:11], v[28:29]
	;; [unrolled: 1-line block ×3, first 2 shown]
	v_add_f64 v[28:29], v[182:183], v[194:195]
	v_fmac_f64_e32 v[178:179], -0.5, v[28:29]
	v_fma_f64 v[48:49], s[2:3], v[26:27], v[178:179]
	v_add_f64 v[28:29], v[186:187], -v[182:183]
	v_add_f64 v[32:33], v[190:191], -v[194:195]
	v_fmac_f64_e32 v[178:179], s[14:15], v[26:27]
	v_add_f64 v[28:29], v[28:29], v[32:33]
	v_fmac_f64_e32 v[178:179], s[8:9], v[24:25]
	v_add_f64 v[0:1], v[0:1], v[200:201]
	v_add_f64 v[20:21], v[20:21], v[184:185]
	v_fmac_f64_e32 v[178:179], s[10:11], v[28:29]
	v_add_f64 v[0:1], v[0:1], v[204:205]
	v_add_f64 v[20:21], v[20:21], v[188:189]
	v_fmac_f64_e32 v[48:49], s[16:17], v[24:25]
	v_mul_f64 v[52:53], v[38:39], s[8:9]
	v_mul_f64 v[56:57], v[178:179], s[2:3]
	v_add_f64 v[0:1], v[0:1], v[208:209]
	v_add_f64 v[20:21], v[20:21], v[192:193]
	v_fmac_f64_e32 v[48:49], s[10:11], v[28:29]
	v_fmac_f64_e32 v[52:53], s[20:21], v[30:31]
	;; [unrolled: 1-line block ×3, first 2 shown]
	v_mul_f64 v[178:179], v[178:179], s[18:19]
	v_add_f64 v[24:25], v[0:1], v[20:21]
	v_add_f64 v[28:29], v[6:7], v[52:53]
	v_mul_f64 v[54:55], v[48:49], s[2:3]
	v_add_f64 v[36:37], v[172:173], v[56:57]
	v_mul_f64 v[58:59], v[44:45], s[8:9]
	v_fmac_f64_e32 v[178:179], s[14:15], v[176:177]
	v_mul_f64 v[176:177], v[44:45], s[22:23]
	v_add_f64 v[44:45], v[0:1], -v[20:21]
	v_add_f64 v[208:209], v[6:7], -v[52:53]
	;; [unrolled: 1-line block ×5, first 2 shown]
	v_fmac_f64_e32 v[54:55], s[10:11], v[34:35]
	v_mul_f64 v[180:181], v[30:31], s[16:17]
	v_add_f64 v[20:21], v[20:21], v[172:173]
	v_add_f64 v[172:173], v[148:149], v[92:93]
	;; [unrolled: 1-line block ×3, first 2 shown]
	v_fmac_f64_e32 v[58:59], s[22:23], v[42:43]
	v_fmac_f64_e32 v[180:181], s[20:21], v[38:39]
	v_mul_f64 v[182:183], v[48:49], s[10:11]
	v_add_f64 v[38:39], v[174:175], v[178:179]
	v_fmac_f64_e32 v[176:177], s[16:17], v[42:43]
	v_add_f64 v[48:49], v[18:19], -v[54:55]
	v_add_f64 v[54:55], v[174:175], -v[178:179]
	v_fma_f64 v[174:175], -0.5, v[172:173], v[156:157]
	v_add_f64 v[194:195], v[154:155], -v[106:107]
	v_add_f64 v[40:41], v[2:3], v[58:59]
	v_add_f64 v[42:43], v[16:17], v[176:177]
	v_add_f64 v[56:57], v[2:3], -v[58:59]
	v_add_f64 v[58:59], v[16:17], -v[176:177]
	v_fma_f64 v[176:177], s[2:3], v[194:195], v[174:175]
	v_add_f64 v[196:197], v[150:151], -v[94:95]
	v_add_f64 v[172:173], v[152:153], -v[148:149]
	v_add_f64 v[178:179], v[104:105], -v[92:93]
	v_fmac_f64_e32 v[174:175], s[14:15], v[194:195]
	v_fmac_f64_e32 v[176:177], s[8:9], v[196:197]
	v_add_f64 v[172:173], v[172:173], v[178:179]
	v_fmac_f64_e32 v[174:175], s[16:17], v[196:197]
	v_add_f64 v[4:5], v[4:5], v[202:203]
	v_fmac_f64_e32 v[176:177], s[10:11], v[172:173]
	v_fmac_f64_e32 v[174:175], s[10:11], v[172:173]
	v_add_f64 v[172:173], v[158:159], v[154:155]
	v_add_f64 v[4:5], v[4:5], v[206:207]
	v_add_f64 v[6:7], v[164:165], -v[168:169]
	v_add_f64 v[18:19], v[80:81], -v[144:145]
	v_add_f64 v[172:173], v[172:173], v[150:151]
	v_add_f64 v[4:5], v[4:5], v[210:211]
	;; [unrolled: 1-line block ×8, first 2 shown]
	v_add_f64 v[46:47], v[4:5], -v[46:47]
	v_add_f64 v[210:211], v[22:23], -v[180:181]
	v_fma_f64 v[22:23], -0.5, v[2:3], v[160:161]
	v_add_f64 v[4:5], v[166:167], -v[82:83]
	v_fma_f64 v[204:205], -0.5, v[18:19], v[162:163]
	v_add_f64 v[188:189], v[164:165], -v[80:81]
	v_add_f64 v[184:185], v[172:173], v[106:107]
	v_add_f64 v[172:173], v[150:151], v[94:95]
	v_fmac_f64_e32 v[182:183], s[14:15], v[34:35]
	v_fma_f64 v[2:3], s[2:3], v[4:5], v[22:23]
	v_add_f64 v[16:17], v[170:171], -v[146:147]
	v_fmac_f64_e32 v[22:23], s[14:15], v[4:5]
	v_fma_f64 v[18:19], s[14:15], v[188:189], v[204:205]
	v_add_f64 v[190:191], v[168:169], -v[144:145]
	v_fmac_f64_e32 v[204:205], s[2:3], v[188:189]
	v_fma_f64 v[178:179], -0.5, v[172:173], v[158:159]
	v_add_f64 v[198:199], v[152:153], -v[104:105]
	v_add_f64 v[34:35], v[50:51], v[182:183]
	v_add_f64 v[50:51], v[50:51], -v[182:183]
	v_fmac_f64_e32 v[2:3], s[8:9], v[16:17]
	v_fmac_f64_e32 v[22:23], s[16:17], v[16:17]
	;; [unrolled: 1-line block ×4, first 2 shown]
	v_fma_f64 v[180:181], s[14:15], v[198:199], v[178:179]
	v_add_f64 v[200:201], v[148:149], -v[92:93]
	v_add_f64 v[172:173], v[154:155], -v[150:151]
	;; [unrolled: 1-line block ×3, first 2 shown]
	v_fmac_f64_e32 v[178:179], s[2:3], v[198:199]
	v_add_f64 v[0:1], v[160:161], v[164:165]
	v_fmac_f64_e32 v[2:3], s[10:11], v[6:7]
	v_fmac_f64_e32 v[22:23], s[10:11], v[6:7]
	v_add_f64 v[6:7], v[162:163], v[166:167]
	v_fmac_f64_e32 v[18:19], s[10:11], v[20:21]
	;; [unrolled: 3-line block ×3, first 2 shown]
	v_add_f64 v[172:173], v[172:173], v[182:183]
	v_fmac_f64_e32 v[178:179], s[8:9], v[200:201]
	v_add_f64 v[0:1], v[0:1], v[168:169]
	v_add_f64 v[6:7], v[6:7], v[170:171]
	;; [unrolled: 1-line block ×3, first 2 shown]
	v_fmac_f64_e32 v[180:181], s[10:11], v[172:173]
	v_fmac_f64_e32 v[178:179], s[10:11], v[172:173]
	v_add_f64 v[0:1], v[0:1], v[144:145]
	v_add_f64 v[6:7], v[6:7], v[146:147]
	;; [unrolled: 1-line block ×3, first 2 shown]
	v_mul_f64 v[186:187], v[180:181], s[8:9]
	v_mul_f64 v[202:203], v[178:179], s[8:9]
	;; [unrolled: 1-line block ×4, first 2 shown]
	v_add_f64 v[0:1], v[0:1], v[80:81]
	v_add_f64 v[6:7], v[6:7], v[82:83]
	;; [unrolled: 1-line block ×3, first 2 shown]
	v_fmac_f64_e32 v[186:187], s[20:21], v[176:177]
	v_fmac_f64_e32 v[202:203], s[22:23], v[174:175]
	;; [unrolled: 1-line block ×4, first 2 shown]
	v_add_f64 v[172:173], v[22:23], v[202:203]
	v_add_f64 v[174:175], v[204:205], v[206:207]
	v_add_f64 v[176:177], v[0:1], -v[20:21]
	v_add_f64 v[180:181], v[2:3], -v[186:187]
	;; [unrolled: 1-line block ×4, first 2 shown]
	s_waitcnt vmcnt(0)
	ds_write_b128 v212, v[24:27]
	ds_write_b128 v212, v[28:31] offset:16
	ds_write_b128 v212, v[32:35] offset:32
	;; [unrolled: 1-line block ×9, first 2 shown]
	s_and_saveexec_b64 s[20:21], vcc
	s_cbranch_execz .LBB0_21
; %bb.20:
	v_add_f64 v[26:27], v[170:171], -v[166:167]
	v_add_f64 v[28:29], v[146:147], -v[82:83]
	v_add_f64 v[26:27], v[26:27], v[28:29]
	v_add_f64 v[28:29], v[166:167], v[82:83]
	v_fmac_f64_e32 v[162:163], -0.5, v[28:29]
	v_add_f64 v[28:29], v[148:149], -v[152:153]
	v_add_f64 v[30:31], v[92:93], -v[104:105]
	v_add_f64 v[30:31], v[28:29], v[30:31]
	v_add_f64 v[28:29], v[152:153], v[104:105]
	v_fmac_f64_e32 v[156:157], -0.5, v[28:29]
	v_fma_f64 v[34:35], s[14:15], v[190:191], v[162:163]
	v_fma_f64 v[36:37], s[2:3], v[196:197], v[156:157]
	v_add_f64 v[28:29], v[150:151], -v[154:155]
	v_add_f64 v[32:33], v[94:95], -v[106:107]
	v_fmac_f64_e32 v[162:163], s[2:3], v[190:191]
	v_fmac_f64_e32 v[156:157], s[14:15], v[196:197]
	;; [unrolled: 1-line block ×4, first 2 shown]
	v_add_f64 v[32:33], v[28:29], v[32:33]
	v_add_f64 v[28:29], v[154:155], v[106:107]
	v_fmac_f64_e32 v[162:163], s[16:17], v[188:189]
	v_fmac_f64_e32 v[156:157], s[8:9], v[194:195]
	v_fmac_f64_e32 v[34:35], s[10:11], v[26:27]
	v_fmac_f64_e32 v[36:37], s[10:11], v[30:31]
	v_fmac_f64_e32 v[158:159], -0.5, v[28:29]
	v_fmac_f64_e32 v[162:163], s[10:11], v[26:27]
	v_fmac_f64_e32 v[156:157], s[10:11], v[30:31]
	v_add_f64 v[26:27], v[168:169], -v[164:165]
	v_add_f64 v[30:31], v[144:145], -v[80:81]
	v_fma_f64 v[38:39], s[14:15], v[200:201], v[158:159]
	v_fmac_f64_e32 v[158:159], s[2:3], v[200:201]
	v_add_f64 v[30:31], v[26:27], v[30:31]
	v_add_f64 v[26:27], v[164:165], v[80:81]
	v_fmac_f64_e32 v[38:39], s[8:9], v[198:199]
	v_fmac_f64_e32 v[158:159], s[16:17], v[198:199]
	v_fmac_f64_e32 v[160:161], -0.5, v[26:27]
	v_fmac_f64_e32 v[38:39], s[10:11], v[32:33]
	v_fmac_f64_e32 v[158:159], s[10:11], v[32:33]
	v_fma_f64 v[44:45], s[2:3], v[16:17], v[160:161]
	v_fmac_f64_e32 v[160:161], s[14:15], v[16:17]
	v_mul_f64 v[40:41], v[38:39], s[18:19]
	v_fmac_f64_e32 v[44:45], s[16:17], v[4:5]
	v_mul_f64 v[38:39], v[38:39], s[2:3]
	;; [unrolled: 2-line block ×3, first 2 shown]
	v_fmac_f64_e32 v[40:41], s[14:15], v[36:37]
	v_fmac_f64_e32 v[44:45], s[10:11], v[30:31]
	;; [unrolled: 1-line block ×5, first 2 shown]
	v_add_f64 v[28:29], v[34:35], -v[40:41]
	v_add_f64 v[26:27], v[44:45], -v[38:39]
	;; [unrolled: 1-line block ×3, first 2 shown]
	v_add_f64 v[36:37], v[34:35], v[40:41]
	v_add_f64 v[34:35], v[44:45], v[38:39]
	;; [unrolled: 1-line block ×4, first 2 shown]
	scratch_load_dword v0, off, off offset:304 ; 4-byte Folded Reload
	v_mul_f64 v[42:43], v[158:159], s[10:11]
	v_fmac_f64_e32 v[42:43], s[14:15], v[156:157]
	v_add_f64 v[4:5], v[18:19], v[192:193]
	v_add_f64 v[18:19], v[6:7], v[184:185]
	v_add_f64 v[24:25], v[204:205], -v[206:207]
	v_add_f64 v[32:33], v[162:163], -v[42:43]
	;; [unrolled: 1-line block ×3, first 2 shown]
	v_add_f64 v[40:41], v[162:163], v[42:43]
	v_add_f64 v[2:3], v[2:3], v[186:187]
	s_waitcnt vmcnt(0)
	v_lshlrev_b32_e32 v0, 4, v0
	ds_write_b128 v0, v[16:19]
	ds_write_b128 v0, v[2:5] offset:16
	ds_write_b128 v0, v[38:41] offset:32
	;; [unrolled: 1-line block ×9, first 2 shown]
.LBB0_21:
	s_or_b64 exec, exec, s[20:21]
	s_waitcnt lgkmcnt(0)
	s_barrier
	ds_read_b128 v[164:167], v254 offset:1440
	ds_read_b128 v[160:163], v254 offset:2880
	;; [unrolled: 1-line block ×22, first 2 shown]
	ds_read_b128 v[168:171], v254
	ds_read_b128 v[80:83], v254 offset:34080
	s_and_saveexec_b64 s[2:3], s[0:1]
	s_cbranch_execz .LBB0_23
; %bb.22:
	ds_read_b128 v[176:179], v254 offset:23520
	ds_read_b128 v[172:175], v254 offset:11520
	;; [unrolled: 1-line block ×3, first 2 shown]
.LBB0_23:
	s_or_b64 exec, exec, s[2:3]
	v_accvgpr_read_b32 v2, a90
	v_accvgpr_read_b32 v4, a92
	;; [unrolled: 1-line block ×4, first 2 shown]
	s_waitcnt lgkmcnt(5)
	v_mul_f64 v[18:19], v[4:5], v[238:239]
	v_mul_f64 v[0:1], v[4:5], v[236:237]
	v_fmac_f64_e32 v[18:19], v[2:3], v[236:237]
	v_fma_f64 v[20:21], v[2:3], v[238:239], -v[0:1]
	v_accvgpr_read_b32 v2, a86
	v_accvgpr_read_b32 v4, a88
	v_accvgpr_read_b32 v5, a89
	v_accvgpr_read_b32 v3, a87
	s_waitcnt lgkmcnt(3)
	v_mul_f64 v[22:23], v[4:5], v[234:235]
	v_mul_f64 v[0:1], v[4:5], v[232:233]
	v_fmac_f64_e32 v[22:23], v[2:3], v[232:233]
	v_fma_f64 v[24:25], v[2:3], v[234:235], -v[0:1]
	v_accvgpr_read_b32 v2, a100
	v_accvgpr_read_b32 v4, a102
	v_accvgpr_read_b32 v5, a103
	v_accvgpr_read_b32 v3, a101
	v_mul_f64 v[26:27], v[4:5], v[230:231]
	v_mul_f64 v[0:1], v[4:5], v[228:229]
	v_fmac_f64_e32 v[26:27], v[2:3], v[228:229]
	v_fma_f64 v[28:29], v[2:3], v[230:231], -v[0:1]
	v_accvgpr_read_b32 v2, a94
	v_accvgpr_read_b32 v4, a96
	v_accvgpr_read_b32 v5, a97
	v_accvgpr_read_b32 v3, a95
	;; [unrolled: 8-line block ×13, first 2 shown]
	s_waitcnt lgkmcnt(2)
	v_mul_f64 v[16:17], v[4:5], v[94:95]
	v_mul_f64 v[0:1], v[4:5], v[92:93]
	v_fmac_f64_e32 v[16:17], v[2:3], v[92:93]
	v_fma_f64 v[92:93], v[2:3], v[94:95], -v[0:1]
	v_accvgpr_read_b32 v2, a144
	v_accvgpr_read_b32 v4, a146
	;; [unrolled: 1-line block ×3, first 2 shown]
	s_waitcnt lgkmcnt(0)
	v_mul_f64 v[94:95], v[4:5], v[82:83]
	v_mul_f64 v[0:1], v[4:5], v[80:81]
	v_accvgpr_read_b32 v4, a156
	v_accvgpr_read_b32 v3, a145
	;; [unrolled: 1-line block ×4, first 2 shown]
	v_fmac_f64_e32 v[94:95], v[2:3], v[80:81]
	v_fma_f64 v[80:81], v[2:3], v[82:83], -v[0:1]
	v_accvgpr_read_b32 v5, a157
	v_mul_f64 v[0:1], v[6:7], v[178:179]
	v_mul_f64 v[2:3], v[6:7], v[176:177]
	v_fmac_f64_e32 v[0:1], v[4:5], v[176:177]
	v_fma_f64 v[4:5], v[4:5], v[178:179], -v[2:3]
	v_accvgpr_read_b32 v179, a155
	v_accvgpr_read_b32 v178, a154
	;; [unrolled: 1-line block ×4, first 2 shown]
	v_mul_f64 v[2:3], v[178:179], v[182:183]
	v_mul_f64 v[6:7], v[178:179], v[180:181]
	v_add_f64 v[82:83], v[168:169], v[18:19]
	v_fmac_f64_e32 v[2:3], v[176:177], v[180:181]
	v_fma_f64 v[6:7], v[176:177], v[182:183], -v[6:7]
	v_add_f64 v[176:177], v[82:83], v[22:23]
	v_add_f64 v[82:83], v[18:19], v[22:23]
	s_mov_b32 s2, 0xe8584caa
	v_fmac_f64_e32 v[168:169], -0.5, v[82:83]
	v_add_f64 v[82:83], v[20:21], -v[24:25]
	s_mov_b32 s3, 0xbfebb67a
	s_mov_b32 s9, 0x3febb67a
	s_mov_b32 s8, s2
	v_fma_f64 v[180:181], s[2:3], v[82:83], v[168:169]
	v_fmac_f64_e32 v[168:169], s[8:9], v[82:83]
	v_add_f64 v[82:83], v[170:171], v[20:21]
	v_add_f64 v[20:21], v[20:21], v[24:25]
	v_fmac_f64_e32 v[170:171], -0.5, v[20:21]
	v_add_f64 v[18:19], v[18:19], -v[22:23]
	v_add_f64 v[20:21], v[26:27], v[30:31]
	v_add_f64 v[178:179], v[82:83], v[24:25]
	v_fma_f64 v[182:183], s[8:9], v[18:19], v[170:171]
	v_fmac_f64_e32 v[170:171], s[2:3], v[18:19]
	v_add_f64 v[18:19], v[164:165], v[26:27]
	v_fmac_f64_e32 v[164:165], -0.5, v[20:21]
	v_add_f64 v[20:21], v[28:29], -v[32:33]
	v_add_f64 v[24:25], v[28:29], v[32:33]
	v_fma_f64 v[22:23], s[2:3], v[20:21], v[164:165]
	v_fmac_f64_e32 v[164:165], s[8:9], v[20:21]
	v_add_f64 v[20:21], v[166:167], v[28:29]
	v_fmac_f64_e32 v[166:167], -0.5, v[24:25]
	v_add_f64 v[26:27], v[26:27], -v[30:31]
	v_add_f64 v[28:29], v[34:35], v[38:39]
	v_add_f64 v[20:21], v[20:21], v[32:33]
	v_fma_f64 v[24:25], s[8:9], v[26:27], v[166:167]
	v_fmac_f64_e32 v[166:167], s[2:3], v[26:27]
	v_add_f64 v[26:27], v[160:161], v[34:35]
	v_fmac_f64_e32 v[160:161], -0.5, v[28:29]
	v_add_f64 v[28:29], v[36:37], -v[40:41]
	v_add_f64 v[32:33], v[36:37], v[40:41]
	v_add_f64 v[18:19], v[18:19], v[30:31]
	v_fma_f64 v[30:31], s[2:3], v[28:29], v[160:161]
	v_fmac_f64_e32 v[160:161], s[8:9], v[28:29]
	v_add_f64 v[28:29], v[162:163], v[36:37]
	v_fmac_f64_e32 v[162:163], -0.5, v[32:33]
	v_add_f64 v[34:35], v[34:35], -v[38:39]
	v_add_f64 v[36:37], v[42:43], v[46:47]
	v_add_f64 v[28:29], v[28:29], v[40:41]
	v_fma_f64 v[32:33], s[8:9], v[34:35], v[162:163]
	v_fmac_f64_e32 v[162:163], s[2:3], v[34:35]
	v_add_f64 v[34:35], v[156:157], v[42:43]
	v_fmac_f64_e32 v[156:157], -0.5, v[36:37]
	v_add_f64 v[36:37], v[44:45], -v[48:49]
	v_add_f64 v[40:41], v[44:45], v[48:49]
	v_add_f64 v[26:27], v[26:27], v[38:39]
	v_fma_f64 v[38:39], s[2:3], v[36:37], v[156:157]
	v_fmac_f64_e32 v[156:157], s[8:9], v[36:37]
	v_add_f64 v[36:37], v[158:159], v[44:45]
	v_fmac_f64_e32 v[158:159], -0.5, v[40:41]
	v_add_f64 v[42:43], v[42:43], -v[46:47]
	v_add_f64 v[44:45], v[50:51], v[54:55]
	v_add_f64 v[36:37], v[36:37], v[48:49]
	v_fma_f64 v[40:41], s[8:9], v[42:43], v[158:159]
	v_fmac_f64_e32 v[158:159], s[2:3], v[42:43]
	v_add_f64 v[42:43], v[152:153], v[50:51]
	v_fmac_f64_e32 v[152:153], -0.5, v[44:45]
	v_add_f64 v[44:45], v[52:53], -v[56:57]
	v_add_f64 v[48:49], v[52:53], v[56:57]
	v_add_f64 v[34:35], v[34:35], v[46:47]
	v_fma_f64 v[46:47], s[2:3], v[44:45], v[152:153]
	v_fmac_f64_e32 v[152:153], s[8:9], v[44:45]
	v_add_f64 v[44:45], v[154:155], v[52:53]
	v_fmac_f64_e32 v[154:155], -0.5, v[48:49]
	v_add_f64 v[50:51], v[50:51], -v[54:55]
	v_add_f64 v[52:53], v[58:59], v[198:199]
	v_add_f64 v[44:45], v[44:45], v[56:57]
	v_fma_f64 v[48:49], s[8:9], v[50:51], v[154:155]
	v_fmac_f64_e32 v[154:155], s[2:3], v[50:51]
	v_add_f64 v[50:51], v[148:149], v[58:59]
	v_fmac_f64_e32 v[148:149], -0.5, v[52:53]
	v_add_f64 v[52:53], v[196:197], -v[192:193]
	v_add_f64 v[56:57], v[196:197], v[192:193]
	v_add_f64 v[42:43], v[42:43], v[54:55]
	v_fma_f64 v[54:55], s[2:3], v[52:53], v[148:149]
	v_fmac_f64_e32 v[148:149], s[8:9], v[52:53]
	v_add_f64 v[52:53], v[150:151], v[196:197]
	v_fmac_f64_e32 v[150:151], -0.5, v[56:57]
	v_add_f64 v[58:59], v[58:59], -v[198:199]
	v_fma_f64 v[56:57], s[8:9], v[58:59], v[150:151]
	v_fmac_f64_e32 v[150:151], s[2:3], v[58:59]
	v_add_f64 v[58:59], v[144:145], v[194:195]
	v_add_f64 v[184:185], v[58:59], v[200:201]
	v_add_f64 v[58:59], v[194:195], v[200:201]
	v_fmac_f64_e32 v[144:145], -0.5, v[58:59]
	v_add_f64 v[58:59], v[190:191], -v[202:203]
	v_fma_f64 v[188:189], s[2:3], v[58:59], v[144:145]
	v_fmac_f64_e32 v[144:145], s[8:9], v[58:59]
	v_add_f64 v[58:59], v[146:147], v[190:191]
	v_add_f64 v[186:187], v[58:59], v[202:203]
	;; [unrolled: 7-line block ×3, first 2 shown]
	v_add_f64 v[192:193], v[58:59], v[94:95]
	v_add_f64 v[58:59], v[16:17], v[94:95]
	v_fmac_f64_e32 v[104:105], -0.5, v[58:59]
	v_add_f64 v[58:59], v[92:93], -v[80:81]
	v_fma_f64 v[196:197], s[2:3], v[58:59], v[104:105]
	v_fmac_f64_e32 v[104:105], s[8:9], v[58:59]
	v_add_f64 v[58:59], v[106:107], v[92:93]
	v_add_f64 v[194:195], v[58:59], v[80:81]
	;; [unrolled: 1-line block ×3, first 2 shown]
	v_fmac_f64_e32 v[106:107], -0.5, v[58:59]
	v_add_f64 v[16:17], v[16:17], -v[94:95]
	v_add_f64 v[50:51], v[50:51], v[198:199]
	v_fma_f64 v[198:199], s[8:9], v[16:17], v[106:107]
	v_fmac_f64_e32 v[106:107], s[2:3], v[16:17]
	v_add_f64 v[16:17], v[0:1], v[2:3]
	v_fma_f64 v[92:93], -0.5, v[16:17], v[172:173]
	v_add_f64 v[16:17], v[4:5], -v[6:7]
	v_fma_f64 v[80:81], s[2:3], v[16:17], v[92:93]
	v_fmac_f64_e32 v[92:93], s[8:9], v[16:17]
	v_add_f64 v[16:17], v[4:5], v[6:7]
	v_fma_f64 v[94:95], -0.5, v[16:17], v[174:175]
	v_add_f64 v[16:17], v[0:1], -v[2:3]
	v_fma_f64 v[82:83], s[8:9], v[16:17], v[94:95]
	v_fmac_f64_e32 v[94:95], s[2:3], v[16:17]
	s_barrier
	scratch_load_dword v16, off, off offset:12 ; 4-byte Folded Reload
	s_waitcnt vmcnt(0)
	ds_write_b128 v16, v[176:179]
	ds_write_b128 v16, v[180:183] offset:160
	ds_write_b128 v16, v[168:171] offset:320
	scratch_load_dword v16, off, off offset:16 ; 4-byte Folded Reload
	s_waitcnt vmcnt(0)
	ds_write_b128 v16, v[18:21]
	ds_write_b128 v16, v[22:25] offset:160
	ds_write_b128 v16, v[164:167] offset:320
	;; [unrolled: 5-line block ×8, first 2 shown]
	s_and_saveexec_b64 s[2:3], s[0:1]
	s_cbranch_execz .LBB0_25
; %bb.24:
	v_add_f64 v[0:1], v[172:173], v[0:1]
	v_add_f64 v[2:3], v[0:1], v[2:3]
	scratch_load_dword v0, off, off         ; 4-byte Folded Reload
	scratch_load_dword v1, off, off offset:4 ; 4-byte Folded Reload
	v_add_f64 v[4:5], v[174:175], v[4:5]
	v_add_f64 v[4:5], v[4:5], v[6:7]
	s_waitcnt vmcnt(0)
	v_mad_legacy_u16 v0, v0, 30, v1
	v_lshlrev_b32_e32 v0, 4, v0
	ds_write_b128 v0, v[2:5]
	ds_write_b128 v0, v[80:83] offset:160
	ds_write_b128 v0, v[92:95] offset:320
.LBB0_25:
	s_or_b64 exec, exec, s[2:3]
	v_accvgpr_read_b32 v193, a179
	v_accvgpr_read_b32 v192, a178
	s_waitcnt lgkmcnt(0)
	s_barrier
	ds_read_b128 v[144:147], v254
	ds_read_b128 v[148:151], v254 offset:1440
	ds_read_b128 v[0:3], v254 offset:14400
	ds_read_b128 v[4:7], v254 offset:15840
	ds_read_b128 v[16:19], v254 offset:28800
	ds_read_b128 v[20:23], v254 offset:30240
	ds_read_b128 v[24:27], v254 offset:8640
	ds_read_b128 v[28:31], v254 offset:10080
	ds_read_b128 v[32:35], v254 offset:23040
	ds_read_b128 v[36:39], v254 offset:24480
	ds_read_b128 v[40:43], v254 offset:31680
	ds_read_b128 v[156:159], v254 offset:2880
	ds_read_b128 v[152:155], v254 offset:4320
	ds_read_b128 v[44:47], v254 offset:17280
	ds_read_b128 v[48:51], v254 offset:18720
	ds_read_b128 v[52:55], v254 offset:7200
	ds_read_b128 v[160:163], v254 offset:5760
	ds_read_b128 v[56:59], v254 offset:11520
	ds_read_b128 v[164:167], v254 offset:12960
	ds_read_b128 v[104:107], v254 offset:21600
	ds_read_b128 v[168:171], v254 offset:20160
	ds_read_b128 v[172:175], v254 offset:25920
	ds_read_b128 v[176:179], v254 offset:27360
	ds_read_b128 v[180:183], v254 offset:33120
	ds_read_b128 v[184:187], v254 offset:34560
	v_accvgpr_read_b32 v191, a177
	v_accvgpr_read_b32 v190, a176
	s_waitcnt lgkmcnt(9)
	v_mul_f64 v[188:189], v[192:193], v[54:55]
	v_fmac_f64_e32 v[188:189], v[190:191], v[52:53]
	v_mul_f64 v[52:53], v[192:193], v[52:53]
	v_fma_f64 v[52:53], v[190:191], v[54:55], -v[52:53]
	v_accvgpr_read_b32 v193, a175
	v_accvgpr_read_b32 v192, a174
	v_accvgpr_read_b32 v191, a173
	v_accvgpr_read_b32 v190, a172
	v_mul_f64 v[54:55], v[192:193], v[2:3]
	v_accvgpr_read_b32 v197, a171
	v_fmac_f64_e32 v[54:55], v[190:191], v[0:1]
	v_mul_f64 v[0:1], v[192:193], v[0:1]
	v_accvgpr_read_b32 v196, a170
	v_fma_f64 v[190:191], v[190:191], v[2:3], -v[0:1]
	v_accvgpr_read_b32 v195, a169
	v_accvgpr_read_b32 v194, a168
	s_waitcnt lgkmcnt(5)
	v_mul_f64 v[192:193], v[196:197], v[106:107]
	v_mul_f64 v[0:1], v[196:197], v[104:105]
	v_fmac_f64_e32 v[192:193], v[194:195], v[104:105]
	v_fma_f64 v[194:195], v[194:195], v[106:107], -v[0:1]
	v_accvgpr_read_b32 v104, a180
	v_accvgpr_read_b32 v106, a182
	v_accvgpr_read_b32 v107, a183
	v_accvgpr_read_b32 v105, a181
	v_mul_f64 v[204:205], v[106:107], v[18:19]
	v_mul_f64 v[0:1], v[106:107], v[16:17]
	v_fmac_f64_e32 v[204:205], v[104:105], v[16:17]
	v_fma_f64 v[208:209], v[104:105], v[18:19], -v[0:1]
	v_accvgpr_read_b32 v16, a188
	v_accvgpr_read_b32 v18, a190
	v_accvgpr_read_b32 v19, a191
	v_accvgpr_read_b32 v17, a189
	;; [unrolled: 8-line block ×3, first 2 shown]
	v_mul_f64 v[24:25], v[18:19], v[6:7]
	v_fmac_f64_e32 v[24:25], v[16:17], v[4:5]
	v_mul_f64 v[0:1], v[18:19], v[4:5]
	v_accvgpr_read_b32 v2, a204
	v_accvgpr_read_b32 v4, a206
	;; [unrolled: 1-line block ×3, first 2 shown]
	v_fma_f64 v[198:199], v[16:17], v[6:7], -v[0:1]
	v_accvgpr_read_b32 v3, a205
	v_mul_f64 v[26:27], v[4:5], v[34:35]
	v_mul_f64 v[0:1], v[4:5], v[32:33]
	v_fmac_f64_e32 v[26:27], v[2:3], v[32:33]
	v_fma_f64 v[200:201], v[2:3], v[34:35], -v[0:1]
	v_accvgpr_read_b32 v2, a196
	v_accvgpr_read_b32 v4, a198
	v_accvgpr_read_b32 v5, a199
	v_accvgpr_read_b32 v3, a197
	v_mul_f64 v[32:33], v[4:5], v[22:23]
	v_mul_f64 v[0:1], v[4:5], v[20:21]
	v_fmac_f64_e32 v[32:33], v[2:3], v[20:21]
	v_fma_f64 v[202:203], v[2:3], v[22:23], -v[0:1]
	v_accvgpr_read_b32 v2, a200
	v_accvgpr_read_b32 v4, a202
	v_accvgpr_read_b32 v5, a203
	;; [unrolled: 8-line block ×8, first 2 shown]
	v_accvgpr_read_b32 v3, a237
	s_waitcnt lgkmcnt(3)
	v_mul_f64 v[236:237], v[4:5], v[174:175]
	v_mul_f64 v[0:1], v[4:5], v[172:173]
	v_fmac_f64_e32 v[236:237], v[2:3], v[172:173]
	v_fma_f64 v[106:107], v[2:3], v[174:175], -v[0:1]
	v_accvgpr_read_b32 v2, a228
	v_accvgpr_read_b32 v4, a230
	;; [unrolled: 1-line block ×4, first 2 shown]
	s_waitcnt lgkmcnt(1)
	v_mul_f64 v[238:239], v[4:5], v[182:183]
	v_mul_f64 v[0:1], v[4:5], v[180:181]
	v_fmac_f64_e32 v[238:239], v[2:3], v[180:181]
	v_fma_f64 v[234:235], v[2:3], v[182:183], -v[0:1]
	v_accvgpr_read_b32 v2, a232
	v_accvgpr_read_b32 v4, a234
	;; [unrolled: 1-line block ×4, first 2 shown]
	v_mul_f64 v[6:7], v[4:5], v[166:167]
	v_mul_f64 v[0:1], v[4:5], v[164:165]
	v_fmac_f64_e32 v[6:7], v[2:3], v[164:165]
	v_fma_f64 v[228:229], v[2:3], v[166:167], -v[0:1]
	v_accvgpr_read_b32 v2, a224
	v_accvgpr_read_b32 v4, a226
	;; [unrolled: 1-line block ×5, first 2 shown]
	v_mul_f64 v[230:231], v[4:5], v[170:171]
	v_mul_f64 v[0:1], v[4:5], v[168:169]
	v_accvgpr_read_b32 v30, a246
	v_accvgpr_read_b32 v31, a247
	v_fmac_f64_e32 v[230:231], v[2:3], v[168:169]
	v_fma_f64 v[0:1], v[2:3], v[170:171], -v[0:1]
	v_accvgpr_read_b32 v29, a245
	v_mul_f64 v[232:233], v[30:31], v[178:179]
	v_mul_f64 v[2:3], v[30:31], v[176:177]
	v_fmac_f64_e32 v[232:233], v[28:29], v[176:177]
	v_fma_f64 v[2:3], v[28:29], v[178:179], -v[2:3]
	v_accvgpr_read_b32 v28, a240
	v_accvgpr_read_b32 v30, a242
	;; [unrolled: 1-line block ×4, first 2 shown]
	s_waitcnt lgkmcnt(0)
	v_mul_f64 v[16:17], v[30:31], v[186:187]
	v_mul_f64 v[4:5], v[30:31], v[184:185]
	v_fmac_f64_e32 v[16:17], v[28:29], v[184:185]
	v_fma_f64 v[4:5], v[28:29], v[186:187], -v[4:5]
	v_add_f64 v[28:29], v[144:145], v[188:189]
	v_add_f64 v[28:29], v[28:29], v[54:55]
	;; [unrolled: 1-line block ×5, first 2 shown]
	s_mov_b32 s8, 0x134454ff
	v_fma_f64 v[164:165], -0.5, v[28:29], v[144:145]
	v_add_f64 v[28:29], v[52:53], -v[208:209]
	s_mov_b32 s9, 0xbfee6f0e
	s_mov_b32 s2, 0x4755a5e
	;; [unrolled: 1-line block ×3, first 2 shown]
	v_fma_f64 v[172:173], s[8:9], v[28:29], v[164:165]
	v_add_f64 v[30:31], v[190:191], -v[194:195]
	s_mov_b32 s3, 0xbfe2cf23
	v_add_f64 v[34:35], v[188:189], -v[54:55]
	v_add_f64 v[36:37], v[204:205], -v[192:193]
	v_fmac_f64_e32 v[164:165], s[14:15], v[28:29]
	s_mov_b32 s16, s2
	v_fmac_f64_e32 v[172:173], s[2:3], v[30:31]
	v_add_f64 v[34:35], v[34:35], v[36:37]
	v_fmac_f64_e32 v[164:165], s[16:17], v[30:31]
	v_fmac_f64_e32 v[172:173], s[10:11], v[34:35]
	;; [unrolled: 1-line block ×3, first 2 shown]
	v_add_f64 v[34:35], v[188:189], v[204:205]
	v_fmac_f64_e32 v[144:145], -0.5, v[34:35]
	v_fma_f64 v[176:177], s[14:15], v[30:31], v[144:145]
	v_fmac_f64_e32 v[144:145], s[8:9], v[30:31]
	v_fmac_f64_e32 v[176:177], s[2:3], v[28:29]
	;; [unrolled: 1-line block ×3, first 2 shown]
	v_add_f64 v[28:29], v[146:147], v[52:53]
	v_add_f64 v[28:29], v[28:29], v[190:191]
	;; [unrolled: 1-line block ×3, first 2 shown]
	v_add_f64 v[34:35], v[54:55], -v[188:189]
	v_add_f64 v[36:37], v[192:193], -v[204:205]
	v_add_f64 v[170:171], v[28:29], v[208:209]
	v_add_f64 v[28:29], v[190:191], v[194:195]
	;; [unrolled: 1-line block ×3, first 2 shown]
	v_fma_f64 v[166:167], -0.5, v[28:29], v[146:147]
	v_add_f64 v[28:29], v[188:189], -v[204:205]
	v_fmac_f64_e32 v[176:177], s[10:11], v[34:35]
	v_fmac_f64_e32 v[144:145], s[10:11], v[34:35]
	v_fma_f64 v[174:175], s[14:15], v[28:29], v[166:167]
	v_add_f64 v[30:31], v[54:55], -v[192:193]
	v_add_f64 v[34:35], v[52:53], -v[190:191]
	;; [unrolled: 1-line block ×3, first 2 shown]
	v_fmac_f64_e32 v[166:167], s[8:9], v[28:29]
	v_fmac_f64_e32 v[174:175], s[16:17], v[30:31]
	v_add_f64 v[34:35], v[34:35], v[36:37]
	v_fmac_f64_e32 v[166:167], s[2:3], v[30:31]
	v_fmac_f64_e32 v[174:175], s[10:11], v[34:35]
	;; [unrolled: 1-line block ×3, first 2 shown]
	v_add_f64 v[34:35], v[52:53], v[208:209]
	v_fmac_f64_e32 v[146:147], -0.5, v[34:35]
	v_fma_f64 v[178:179], s[8:9], v[30:31], v[146:147]
	v_fmac_f64_e32 v[146:147], s[14:15], v[30:31]
	v_fmac_f64_e32 v[178:179], s[16:17], v[28:29]
	;; [unrolled: 1-line block ×3, first 2 shown]
	v_add_f64 v[28:29], v[148:149], v[220:221]
	v_add_f64 v[28:29], v[28:29], v[24:25]
	;; [unrolled: 1-line block ×3, first 2 shown]
	v_add_f64 v[34:35], v[190:191], -v[52:53]
	v_add_f64 v[36:37], v[194:195], -v[208:209]
	v_add_f64 v[184:185], v[28:29], v[32:33]
	v_add_f64 v[28:29], v[24:25], v[26:27]
	;; [unrolled: 1-line block ×3, first 2 shown]
	v_fma_f64 v[180:181], -0.5, v[28:29], v[148:149]
	v_add_f64 v[28:29], v[196:197], -v[202:203]
	v_fmac_f64_e32 v[178:179], s[10:11], v[34:35]
	v_fmac_f64_e32 v[146:147], s[10:11], v[34:35]
	v_fma_f64 v[188:189], s[8:9], v[28:29], v[180:181]
	v_add_f64 v[30:31], v[198:199], -v[200:201]
	v_add_f64 v[34:35], v[220:221], -v[24:25]
	;; [unrolled: 1-line block ×3, first 2 shown]
	v_fmac_f64_e32 v[180:181], s[14:15], v[28:29]
	v_fmac_f64_e32 v[188:189], s[2:3], v[30:31]
	v_add_f64 v[34:35], v[34:35], v[36:37]
	v_fmac_f64_e32 v[180:181], s[16:17], v[30:31]
	v_fmac_f64_e32 v[188:189], s[10:11], v[34:35]
	;; [unrolled: 1-line block ×3, first 2 shown]
	v_add_f64 v[34:35], v[220:221], v[32:33]
	v_fmac_f64_e32 v[148:149], -0.5, v[34:35]
	v_fma_f64 v[192:193], s[14:15], v[30:31], v[148:149]
	v_fmac_f64_e32 v[148:149], s[8:9], v[30:31]
	v_fmac_f64_e32 v[192:193], s[2:3], v[28:29]
	;; [unrolled: 1-line block ×3, first 2 shown]
	v_add_f64 v[28:29], v[150:151], v[196:197]
	v_add_f64 v[28:29], v[28:29], v[198:199]
	v_add_f64 v[28:29], v[28:29], v[200:201]
	v_add_f64 v[186:187], v[28:29], v[202:203]
	v_add_f64 v[28:29], v[198:199], v[200:201]
	v_fma_f64 v[182:183], -0.5, v[28:29], v[150:151]
	v_add_f64 v[28:29], v[220:221], -v[32:33]
	v_add_f64 v[34:35], v[24:25], -v[220:221]
	;; [unrolled: 1-line block ×3, first 2 shown]
	v_fma_f64 v[190:191], s[14:15], v[28:29], v[182:183]
	v_add_f64 v[24:25], v[24:25], -v[26:27]
	v_add_f64 v[26:27], v[196:197], -v[198:199]
	;; [unrolled: 1-line block ×3, first 2 shown]
	v_fmac_f64_e32 v[182:183], s[8:9], v[28:29]
	v_fmac_f64_e32 v[190:191], s[16:17], v[24:25]
	v_add_f64 v[26:27], v[26:27], v[30:31]
	v_fmac_f64_e32 v[182:183], s[2:3], v[24:25]
	v_fmac_f64_e32 v[190:191], s[10:11], v[26:27]
	v_fmac_f64_e32 v[182:183], s[10:11], v[26:27]
	v_add_f64 v[26:27], v[196:197], v[202:203]
	v_fmac_f64_e32 v[150:151], -0.5, v[26:27]
	v_fma_f64 v[194:195], s[8:9], v[24:25], v[150:151]
	v_fmac_f64_e32 v[150:151], s[14:15], v[24:25]
	v_add_f64 v[24:25], v[156:157], v[206:207]
	v_add_f64 v[24:25], v[24:25], v[20:21]
	;; [unrolled: 1-line block ×3, first 2 shown]
	v_add_f64 v[26:27], v[198:199], -v[196:197]
	v_add_f64 v[30:31], v[200:201], -v[202:203]
	v_add_f64 v[200:201], v[24:25], v[210:211]
	v_add_f64 v[24:25], v[20:21], v[22:23]
	v_fmac_f64_e32 v[194:195], s[16:17], v[28:29]
	v_add_f64 v[26:27], v[26:27], v[30:31]
	v_fmac_f64_e32 v[150:151], s[2:3], v[28:29]
	v_fma_f64 v[196:197], -0.5, v[24:25], v[156:157]
	v_add_f64 v[24:25], v[212:213], -v[218:219]
	v_fmac_f64_e32 v[194:195], s[10:11], v[26:27]
	v_fmac_f64_e32 v[150:151], s[10:11], v[26:27]
	v_fma_f64 v[204:205], s[8:9], v[24:25], v[196:197]
	v_add_f64 v[26:27], v[214:215], -v[216:217]
	v_add_f64 v[28:29], v[206:207], -v[20:21]
	;; [unrolled: 1-line block ×3, first 2 shown]
	v_fmac_f64_e32 v[196:197], s[14:15], v[24:25]
	v_fmac_f64_e32 v[204:205], s[2:3], v[26:27]
	v_add_f64 v[28:29], v[28:29], v[30:31]
	v_fmac_f64_e32 v[196:197], s[16:17], v[26:27]
	v_fmac_f64_e32 v[204:205], s[10:11], v[28:29]
	;; [unrolled: 1-line block ×3, first 2 shown]
	v_add_f64 v[28:29], v[206:207], v[210:211]
	v_fmac_f64_e32 v[156:157], -0.5, v[28:29]
	v_fma_f64 v[208:209], s[14:15], v[26:27], v[156:157]
	v_fmac_f64_e32 v[156:157], s[8:9], v[26:27]
	v_fmac_f64_e32 v[208:209], s[2:3], v[24:25]
	;; [unrolled: 1-line block ×3, first 2 shown]
	v_add_f64 v[24:25], v[158:159], v[212:213]
	v_add_f64 v[24:25], v[24:25], v[214:215]
	;; [unrolled: 1-line block ×5, first 2 shown]
	v_fma_f64 v[198:199], -0.5, v[24:25], v[158:159]
	v_add_f64 v[24:25], v[206:207], -v[210:211]
	v_add_f64 v[28:29], v[20:21], -v[206:207]
	;; [unrolled: 1-line block ×3, first 2 shown]
	v_fma_f64 v[206:207], s[14:15], v[24:25], v[198:199]
	v_add_f64 v[20:21], v[20:21], -v[22:23]
	v_add_f64 v[22:23], v[212:213], -v[214:215]
	;; [unrolled: 1-line block ×3, first 2 shown]
	v_fmac_f64_e32 v[198:199], s[8:9], v[24:25]
	v_fmac_f64_e32 v[206:207], s[16:17], v[20:21]
	v_add_f64 v[22:23], v[22:23], v[26:27]
	v_fmac_f64_e32 v[198:199], s[2:3], v[20:21]
	v_fmac_f64_e32 v[206:207], s[10:11], v[22:23]
	v_fmac_f64_e32 v[198:199], s[10:11], v[22:23]
	v_add_f64 v[22:23], v[212:213], v[218:219]
	v_fmac_f64_e32 v[158:159], -0.5, v[22:23]
	v_fma_f64 v[210:211], s[8:9], v[20:21], v[158:159]
	v_fmac_f64_e32 v[158:159], s[14:15], v[20:21]
	v_add_f64 v[20:21], v[152:153], v[222:223]
	v_add_f64 v[20:21], v[20:21], v[226:227]
	v_add_f64 v[20:21], v[20:21], v[236:237]
	v_add_f64 v[22:23], v[214:215], -v[212:213]
	v_add_f64 v[26:27], v[216:217], -v[218:219]
	v_add_f64 v[216:217], v[20:21], v[238:239]
	v_add_f64 v[20:21], v[226:227], v[236:237]
	v_fmac_f64_e32 v[210:211], s[16:17], v[24:25]
	v_add_f64 v[22:23], v[22:23], v[26:27]
	v_fmac_f64_e32 v[158:159], s[2:3], v[24:25]
	v_fma_f64 v[212:213], -0.5, v[20:21], v[152:153]
	v_add_f64 v[20:21], v[18:19], -v[234:235]
	v_fmac_f64_e32 v[210:211], s[10:11], v[22:23]
	v_fmac_f64_e32 v[158:159], s[10:11], v[22:23]
	v_fma_f64 v[220:221], s[8:9], v[20:21], v[212:213]
	v_add_f64 v[22:23], v[104:105], -v[106:107]
	v_add_f64 v[24:25], v[222:223], -v[226:227]
	;; [unrolled: 1-line block ×3, first 2 shown]
	v_fmac_f64_e32 v[212:213], s[14:15], v[20:21]
	v_fmac_f64_e32 v[220:221], s[2:3], v[22:23]
	v_add_f64 v[24:25], v[24:25], v[26:27]
	v_fmac_f64_e32 v[212:213], s[16:17], v[22:23]
	v_fmac_f64_e32 v[220:221], s[10:11], v[24:25]
	;; [unrolled: 1-line block ×3, first 2 shown]
	v_add_f64 v[24:25], v[222:223], v[238:239]
	v_fmac_f64_e32 v[152:153], -0.5, v[24:25]
	v_fma_f64 v[224:225], s[14:15], v[22:23], v[152:153]
	v_fmac_f64_e32 v[152:153], s[8:9], v[22:23]
	v_fmac_f64_e32 v[224:225], s[2:3], v[20:21]
	;; [unrolled: 1-line block ×3, first 2 shown]
	v_add_f64 v[20:21], v[154:155], v[18:19]
	v_add_f64 v[20:21], v[20:21], v[104:105]
	;; [unrolled: 1-line block ×3, first 2 shown]
	v_add_f64 v[24:25], v[226:227], -v[222:223]
	v_add_f64 v[26:27], v[236:237], -v[238:239]
	v_add_f64 v[218:219], v[20:21], v[234:235]
	v_add_f64 v[20:21], v[104:105], v[106:107]
	;; [unrolled: 1-line block ×3, first 2 shown]
	v_fma_f64 v[214:215], -0.5, v[20:21], v[154:155]
	v_add_f64 v[20:21], v[222:223], -v[238:239]
	v_fmac_f64_e32 v[224:225], s[10:11], v[24:25]
	v_fmac_f64_e32 v[152:153], s[10:11], v[24:25]
	v_fma_f64 v[222:223], s[14:15], v[20:21], v[214:215]
	v_add_f64 v[22:23], v[226:227], -v[236:237]
	v_add_f64 v[24:25], v[18:19], -v[104:105]
	;; [unrolled: 1-line block ×3, first 2 shown]
	v_fmac_f64_e32 v[214:215], s[8:9], v[20:21]
	v_fmac_f64_e32 v[222:223], s[16:17], v[22:23]
	v_add_f64 v[24:25], v[24:25], v[26:27]
	v_fmac_f64_e32 v[214:215], s[2:3], v[22:23]
	v_fmac_f64_e32 v[222:223], s[10:11], v[24:25]
	;; [unrolled: 1-line block ×3, first 2 shown]
	v_add_f64 v[24:25], v[18:19], v[234:235]
	v_fmac_f64_e32 v[154:155], -0.5, v[24:25]
	v_fma_f64 v[226:227], s[8:9], v[22:23], v[154:155]
	v_fmac_f64_e32 v[154:155], s[14:15], v[22:23]
	v_fmac_f64_e32 v[226:227], s[16:17], v[20:21]
	;; [unrolled: 1-line block ×3, first 2 shown]
	v_add_f64 v[20:21], v[230:231], v[232:233]
	v_add_f64 v[28:29], v[28:29], v[30:31]
	v_add_f64 v[18:19], v[104:105], -v[18:19]
	v_add_f64 v[24:25], v[106:107], -v[234:235]
	v_fma_f64 v[104:105], -0.5, v[20:21], v[160:161]
	v_add_f64 v[20:21], v[228:229], -v[4:5]
	v_fmac_f64_e32 v[208:209], s[10:11], v[28:29]
	v_fmac_f64_e32 v[156:157], s[10:11], v[28:29]
	v_add_f64 v[18:19], v[18:19], v[24:25]
	v_fma_f64 v[22:23], s[8:9], v[20:21], v[104:105]
	v_add_f64 v[24:25], v[0:1], -v[2:3]
	v_add_f64 v[26:27], v[6:7], -v[230:231]
	;; [unrolled: 1-line block ×3, first 2 shown]
	v_fmac_f64_e32 v[104:105], s[14:15], v[20:21]
	v_fmac_f64_e32 v[22:23], s[2:3], v[24:25]
	v_add_f64 v[26:27], v[26:27], v[28:29]
	v_fmac_f64_e32 v[104:105], s[16:17], v[24:25]
	v_fmac_f64_e32 v[22:23], s[10:11], v[26:27]
	;; [unrolled: 1-line block ×3, first 2 shown]
	v_add_f64 v[26:27], v[6:7], v[16:17]
	v_fmac_f64_e32 v[226:227], s[10:11], v[18:19]
	v_fmac_f64_e32 v[154:155], s[10:11], v[18:19]
	v_add_f64 v[18:19], v[160:161], v[6:7]
	v_fmac_f64_e32 v[160:161], -0.5, v[26:27]
	v_add_f64 v[18:19], v[18:19], v[230:231]
	v_fma_f64 v[26:27], s[14:15], v[24:25], v[160:161]
	v_add_f64 v[28:29], v[230:231], -v[6:7]
	v_add_f64 v[30:31], v[232:233], -v[16:17]
	v_fmac_f64_e32 v[160:161], s[8:9], v[24:25]
	v_add_f64 v[24:25], v[0:1], v[2:3]
	v_add_f64 v[18:19], v[18:19], v[232:233]
	v_fmac_f64_e32 v[26:27], s[2:3], v[20:21]
	v_add_f64 v[28:29], v[28:29], v[30:31]
	v_fmac_f64_e32 v[160:161], s[16:17], v[20:21]
	v_fma_f64 v[106:107], -0.5, v[24:25], v[162:163]
	v_add_f64 v[6:7], v[6:7], -v[16:17]
	v_add_f64 v[18:19], v[18:19], v[16:17]
	v_fmac_f64_e32 v[26:27], s[10:11], v[28:29]
	v_fmac_f64_e32 v[160:161], s[10:11], v[28:29]
	v_fma_f64 v[24:25], s[14:15], v[6:7], v[106:107]
	v_add_f64 v[16:17], v[230:231], -v[232:233]
	v_add_f64 v[28:29], v[228:229], -v[0:1]
	;; [unrolled: 1-line block ×3, first 2 shown]
	v_fmac_f64_e32 v[106:107], s[8:9], v[6:7]
	v_fmac_f64_e32 v[24:25], s[16:17], v[16:17]
	v_add_f64 v[28:29], v[28:29], v[30:31]
	v_fmac_f64_e32 v[106:107], s[2:3], v[16:17]
	v_add_f64 v[20:21], v[162:163], v[228:229]
	v_fmac_f64_e32 v[24:25], s[10:11], v[28:29]
	v_fmac_f64_e32 v[106:107], s[10:11], v[28:29]
	v_add_f64 v[28:29], v[228:229], v[4:5]
	v_add_f64 v[20:21], v[20:21], v[0:1]
	v_fmac_f64_e32 v[162:163], -0.5, v[28:29]
	v_add_f64 v[20:21], v[20:21], v[2:3]
	v_fma_f64 v[28:29], s[8:9], v[16:17], v[162:163]
	v_add_f64 v[0:1], v[0:1], -v[228:229]
	v_add_f64 v[2:3], v[2:3], -v[4:5]
	v_fmac_f64_e32 v[162:163], s[14:15], v[16:17]
	v_fmac_f64_e32 v[28:29], s[16:17], v[6:7]
	v_add_f64 v[0:1], v[0:1], v[2:3]
	v_fmac_f64_e32 v[162:163], s[2:3], v[6:7]
	v_fmac_f64_e32 v[28:29], s[10:11], v[0:1]
	;; [unrolled: 1-line block ×3, first 2 shown]
	s_barrier
	scratch_load_dword v0, off, off offset:268 ; 4-byte Folded Reload
	s_waitcnt vmcnt(0)
	ds_write_b128 v0, v[168:171]
	ds_write_b128 v0, v[172:175] offset:480
	ds_write_b128 v0, v[176:179] offset:960
	ds_write_b128 v0, v[144:147] offset:1440
	ds_write_b128 v0, v[164:167] offset:1920
	scratch_load_dword v0, off, off offset:272 ; 4-byte Folded Reload
	v_add_f64 v[34:35], v[34:35], v[36:37]
	v_fmac_f64_e32 v[192:193], s[10:11], v[34:35]
	v_fmac_f64_e32 v[148:149], s[10:11], v[34:35]
	s_waitcnt vmcnt(0)
	ds_write_b128 v0, v[184:187]
	ds_write_b128 v0, v[188:191] offset:480
	ds_write_b128 v0, v[192:195] offset:960
	ds_write_b128 v0, v[148:151] offset:1440
	ds_write_b128 v0, v[180:183] offset:1920
	scratch_load_dword v0, off, off offset:276 ; 4-byte Folded Reload
	s_waitcnt vmcnt(0)
	ds_write_b128 v0, v[200:203]
	ds_write_b128 v0, v[204:207] offset:480
	ds_write_b128 v0, v[208:211] offset:960
	ds_write_b128 v0, v[156:159] offset:1440
	ds_write_b128 v0, v[196:199] offset:1920
	scratch_load_dword v0, off, off offset:280 ; 4-byte Folded Reload
	;; [unrolled: 7-line block ×3, first 2 shown]
	v_add_f64 v[20:21], v[20:21], v[4:5]
	s_waitcnt vmcnt(0)
	ds_write_b128 v0, v[18:21]
	ds_write_b128 v0, v[22:25] offset:480
	ds_write_b128 v0, v[26:29] offset:960
	;; [unrolled: 1-line block ×4, first 2 shown]
	s_waitcnt lgkmcnt(0)
	s_barrier
	ds_read_b128 v[168:171], v254 offset:1440
	ds_read_b128 v[164:167], v254 offset:2880
	;; [unrolled: 1-line block ×22, first 2 shown]
	ds_read_b128 v[172:175], v254
	ds_read_b128 v[176:179], v254 offset:34080
	s_and_saveexec_b64 s[2:3], s[0:1]
	s_cbranch_execz .LBB0_27
; %bb.26:
	ds_read_b128 v[80:83], v254 offset:23520
	ds_read_b128 v[104:107], v254 offset:11520
	;; [unrolled: 1-line block ×3, first 2 shown]
.LBB0_27:
	s_or_b64 exec, exec, s[2:3]
	v_accvgpr_read_b32 v2, a164
	v_accvgpr_read_b32 v4, a166
	;; [unrolled: 1-line block ×4, first 2 shown]
	s_waitcnt lgkmcnt(5)
	v_mul_f64 v[6:7], v[4:5], v[238:239]
	v_mul_f64 v[0:1], v[4:5], v[236:237]
	v_fmac_f64_e32 v[6:7], v[2:3], v[236:237]
	v_fma_f64 v[16:17], v[2:3], v[238:239], -v[0:1]
	v_accvgpr_read_b32 v2, a160
	v_accvgpr_read_b32 v4, a162
	;; [unrolled: 1-line block ×4, first 2 shown]
	s_waitcnt lgkmcnt(3)
	v_mul_f64 v[18:19], v[4:5], v[234:235]
	v_mul_f64 v[0:1], v[4:5], v[232:233]
	v_fmac_f64_e32 v[18:19], v[2:3], v[232:233]
	v_fma_f64 v[20:21], v[2:3], v[234:235], -v[0:1]
	v_accvgpr_read_b32 v2, a50
	v_accvgpr_read_b32 v4, a52
	v_accvgpr_read_b32 v5, a53
	v_accvgpr_read_b32 v3, a51
	v_mul_f64 v[22:23], v[4:5], v[230:231]
	v_mul_f64 v[0:1], v[4:5], v[228:229]
	v_fmac_f64_e32 v[22:23], v[2:3], v[228:229]
	v_fma_f64 v[24:25], v[2:3], v[230:231], -v[0:1]
	v_accvgpr_read_b32 v2, a248
	v_accvgpr_read_b32 v4, a250
	v_accvgpr_read_b32 v5, a251
	v_accvgpr_read_b32 v3, a249
	;; [unrolled: 8-line block ×13, first 2 shown]
	s_waitcnt lgkmcnt(2)
	v_mul_f64 v[186:187], v[4:5], v[182:183]
	v_mul_f64 v[0:1], v[4:5], v[180:181]
	v_fmac_f64_e32 v[186:187], v[2:3], v[180:181]
	v_fma_f64 v[196:197], v[2:3], v[182:183], -v[0:1]
	v_accvgpr_read_b32 v2, a30
	v_accvgpr_read_b32 v4, a32
	;; [unrolled: 1-line block ×4, first 2 shown]
	s_waitcnt lgkmcnt(0)
	v_mul_f64 v[198:199], v[4:5], v[178:179]
	v_mul_f64 v[0:1], v[4:5], v[176:177]
	v_fmac_f64_e32 v[198:199], v[2:3], v[176:177]
	v_fma_f64 v[200:201], v[2:3], v[178:179], -v[0:1]
	v_add_f64 v[2:3], v[6:7], v[18:19]
	s_mov_b32 s2, 0xe8584caa
	v_add_f64 v[0:1], v[172:173], v[6:7]
	v_fmac_f64_e32 v[172:173], -0.5, v[2:3]
	v_add_f64 v[2:3], v[16:17], -v[20:21]
	s_mov_b32 s3, 0xbfebb67a
	s_mov_b32 s9, 0x3febb67a
	;; [unrolled: 1-line block ×3, first 2 shown]
	v_fma_f64 v[4:5], s[2:3], v[2:3], v[172:173]
	v_fmac_f64_e32 v[172:173], s[8:9], v[2:3]
	v_add_f64 v[2:3], v[174:175], v[16:17]
	v_add_f64 v[16:17], v[16:17], v[20:21]
	v_add_f64 v[0:1], v[0:1], v[18:19]
	v_fmac_f64_e32 v[174:175], -0.5, v[16:17]
	v_add_f64 v[16:17], v[6:7], -v[18:19]
	v_add_f64 v[18:19], v[22:23], v[26:27]
	v_fma_f64 v[6:7], s[8:9], v[16:17], v[174:175]
	v_fmac_f64_e32 v[174:175], s[2:3], v[16:17]
	v_add_f64 v[16:17], v[168:169], v[22:23]
	v_fmac_f64_e32 v[168:169], -0.5, v[18:19]
	v_add_f64 v[18:19], v[24:25], -v[28:29]
	v_add_f64 v[2:3], v[2:3], v[20:21]
	v_fma_f64 v[20:21], s[2:3], v[18:19], v[168:169]
	v_fmac_f64_e32 v[168:169], s[8:9], v[18:19]
	v_add_f64 v[18:19], v[170:171], v[24:25]
	v_add_f64 v[24:25], v[24:25], v[28:29]
	v_add_f64 v[16:17], v[16:17], v[26:27]
	v_fmac_f64_e32 v[170:171], -0.5, v[24:25]
	v_add_f64 v[24:25], v[22:23], -v[26:27]
	v_add_f64 v[26:27], v[30:31], v[34:35]
	v_fma_f64 v[22:23], s[8:9], v[24:25], v[170:171]
	v_fmac_f64_e32 v[170:171], s[2:3], v[24:25]
	v_add_f64 v[24:25], v[164:165], v[30:31]
	v_fmac_f64_e32 v[164:165], -0.5, v[26:27]
	v_add_f64 v[26:27], v[32:33], -v[36:37]
	v_add_f64 v[18:19], v[18:19], v[28:29]
	;; [unrolled: 14-line block ×5, first 2 shown]
	v_fma_f64 v[52:53], s[2:3], v[50:51], v[152:153]
	v_fmac_f64_e32 v[152:153], s[8:9], v[50:51]
	v_add_f64 v[50:51], v[154:155], v[56:57]
	v_add_f64 v[56:57], v[56:57], v[192:193]
	;; [unrolled: 1-line block ×3, first 2 shown]
	v_fmac_f64_e32 v[154:155], -0.5, v[56:57]
	v_add_f64 v[56:57], v[54:55], -v[58:59]
	v_add_f64 v[58:59], v[194:195], v[190:191]
	s_barrier
	ds_write_b128 v254, v[0:3]
	ds_write_b128 v254, v[4:7] offset:2400
	ds_write_b128 v254, v[172:175] offset:4800
	v_accvgpr_read_b32 v0, a84
	v_fma_f64 v[54:55], s[8:9], v[56:57], v[154:155]
	v_fmac_f64_e32 v[154:155], s[2:3], v[56:57]
	v_add_f64 v[56:57], v[148:149], v[194:195]
	v_fmac_f64_e32 v[148:149], -0.5, v[58:59]
	v_add_f64 v[58:59], v[188:189], -v[184:185]
	v_add_f64 v[178:179], v[188:189], v[184:185]
	ds_write_b128 v0, v[16:19]
	ds_write_b128 v0, v[20:23] offset:2400
	ds_write_b128 v0, v[168:171] offset:4800
	;; [unrolled: 1-line block ×5, first 2 shown]
	v_accvgpr_read_b32 v0, a85
	v_fma_f64 v[176:177], s[2:3], v[58:59], v[148:149]
	v_fmac_f64_e32 v[148:149], s[8:9], v[58:59]
	v_add_f64 v[58:59], v[150:151], v[188:189]
	v_fmac_f64_e32 v[150:151], -0.5, v[178:179]
	v_add_f64 v[180:181], v[194:195], -v[190:191]
	v_add_f64 v[182:183], v[186:187], v[198:199]
	ds_write_b128 v0, v[32:35]
	ds_write_b128 v0, v[36:39] offset:2400
	ds_write_b128 v0, v[160:163] offset:4800
	v_accvgpr_read_b32 v0, a98
	v_add_f64 v[50:51], v[50:51], v[192:193]
	v_fma_f64 v[178:179], s[8:9], v[180:181], v[150:151]
	v_fmac_f64_e32 v[150:151], s[2:3], v[180:181]
	v_add_f64 v[180:181], v[144:145], v[186:187]
	v_fmac_f64_e32 v[144:145], -0.5, v[182:183]
	v_add_f64 v[182:183], v[196:197], -v[200:201]
	ds_write_b128 v0, v[40:43] offset:14400
	ds_write_b128 v0, v[44:47] offset:16800
	ds_write_b128 v0, v[156:159] offset:19200
	v_accvgpr_read_b32 v0, a55
	v_add_f64 v[56:57], v[56:57], v[190:191]
	v_add_f64 v[58:59], v[58:59], v[184:185]
	v_fma_f64 v[184:185], s[2:3], v[182:183], v[144:145]
	v_fmac_f64_e32 v[144:145], s[8:9], v[182:183]
	v_add_f64 v[182:183], v[146:147], v[196:197]
	v_add_f64 v[188:189], v[196:197], v[200:201]
	ds_write_b128 v0, v[48:51] offset:21600
	ds_write_b128 v0, v[52:55] offset:24000
	;; [unrolled: 1-line block ×3, first 2 shown]
	v_accvgpr_read_b32 v0, a99
	v_add_f64 v[180:181], v[180:181], v[198:199]
	v_add_f64 v[182:183], v[182:183], v[200:201]
	v_fmac_f64_e32 v[146:147], -0.5, v[188:189]
	v_add_f64 v[188:189], v[186:187], -v[198:199]
	ds_write_b128 v0, v[56:59]
	ds_write_b128 v0, v[176:179] offset:2400
	ds_write_b128 v0, v[148:151] offset:4800
	v_accvgpr_read_b32 v0, a22
	v_fma_f64 v[186:187], s[8:9], v[188:189], v[146:147]
	v_fmac_f64_e32 v[146:147], s[2:3], v[188:189]
	ds_write_b128 v0, v[180:183] offset:28800
	ds_write_b128 v0, v[184:187] offset:31200
	;; [unrolled: 1-line block ×3, first 2 shown]
	s_and_saveexec_b64 s[10:11], s[0:1]
	s_cbranch_execz .LBB0_29
; %bb.28:
	v_accvgpr_read_b32 v18, a60
	v_accvgpr_read_b32 v20, a62
	;; [unrolled: 1-line block ×5, first 2 shown]
	v_mul_f64 v[0:1], v[20:21], v[80:81]
	v_accvgpr_read_b32 v26, a58
	v_accvgpr_read_b32 v27, a59
	v_fma_f64 v[4:5], v[18:19], v[82:83], -v[0:1]
	v_accvgpr_read_b32 v25, a57
	v_mul_f64 v[0:1], v[26:27], v[92:93]
	v_fma_f64 v[16:17], v[24:25], v[94:95], -v[0:1]
	v_mul_f64 v[20:21], v[20:21], v[82:83]
	v_mul_f64 v[22:23], v[26:27], v[94:95]
	v_add_f64 v[0:1], v[4:5], v[16:17]
	v_fmac_f64_e32 v[20:21], v[18:19], v[80:81]
	v_fmac_f64_e32 v[22:23], v[24:25], v[92:93]
	v_fma_f64 v[2:3], -0.5, v[0:1], v[106:107]
	v_add_f64 v[0:1], v[20:21], -v[22:23]
	v_fma_f64 v[6:7], s[2:3], v[0:1], v[2:3]
	v_fmac_f64_e32 v[2:3], s[8:9], v[0:1]
	v_add_f64 v[0:1], v[106:107], v[4:5]
	v_add_f64 v[18:19], v[0:1], v[16:17]
	;; [unrolled: 1-line block ×3, first 2 shown]
	v_fma_f64 v[0:1], -0.5, v[0:1], v[104:105]
	v_add_f64 v[16:17], v[4:5], -v[16:17]
	v_fma_f64 v[4:5], s[8:9], v[16:17], v[0:1]
	v_fmac_f64_e32 v[0:1], s[2:3], v[16:17]
	v_add_f64 v[16:17], v[104:105], v[20:21]
	v_add_f64 v[16:17], v[16:17], v[22:23]
	v_accvgpr_read_b32 v20, a1
	ds_write_b128 v20, v[16:19] offset:28800
	ds_write_b128 v20, v[0:3] offset:31200
	;; [unrolled: 1-line block ×3, first 2 shown]
.LBB0_29:
	s_or_b64 exec, exec, s[10:11]
	s_waitcnt lgkmcnt(0)
	s_barrier
	ds_read_b128 v[28:31], v254 offset:7200
	ds_read_b128 v[0:3], v254
	ds_read_b128 v[4:7], v254 offset:1440
	ds_read_b128 v[32:35], v254 offset:14400
	;; [unrolled: 1-line block ×17, first 2 shown]
	s_waitcnt lgkmcnt(14)
	v_mul_f64 v[44:45], v[62:63], v[30:31]
	v_fmac_f64_e32 v[44:45], v[60:61], v[28:29]
	v_mul_f64 v[28:29], v[62:63], v[28:29]
	v_fma_f64 v[60:61], v[60:61], v[30:31], -v[28:29]
	ds_read_b128 v[28:31], v254 offset:21600
	v_mul_f64 v[168:169], v[74:75], v[34:35]
	v_fmac_f64_e32 v[168:169], v[72:73], v[32:33]
	v_mul_f64 v[32:33], v[74:75], v[32:33]
	v_fma_f64 v[170:171], v[72:73], v[34:35], -v[32:33]
	ds_read_b128 v[32:35], v254 offset:20160
	s_waitcnt lgkmcnt(1)
	v_mul_f64 v[172:173], v[70:71], v[30:31]
	v_fmac_f64_e32 v[172:173], v[68:69], v[28:29]
	v_mul_f64 v[28:29], v[70:71], v[28:29]
	v_mul_f64 v[46:47], v[10:11], v[54:55]
	;; [unrolled: 1-line block ×4, first 2 shown]
	v_fma_f64 v[174:175], v[68:69], v[30:31], -v[28:29]
	v_mul_f64 v[176:177], v[66:67], v[42:43]
	v_mul_f64 v[28:29], v[66:67], v[40:41]
	v_fmac_f64_e32 v[46:47], v[8:9], v[52:53]
	v_fma_f64 v[52:53], v[8:9], v[54:55], -v[10:11]
	v_mul_f64 v[178:179], v[86:87], v[38:39]
	v_mul_f64 v[8:9], v[86:87], v[36:37]
	v_fmac_f64_e32 v[180:181], v[76:77], v[56:57]
	v_mul_f64 v[56:57], v[78:79], v[56:57]
	v_mul_f64 v[182:183], v[14:15], v[50:51]
	v_mul_f64 v[14:15], v[14:15], v[48:49]
	v_fmac_f64_e32 v[176:177], v[64:65], v[40:41]
	v_fma_f64 v[64:65], v[64:65], v[42:43], -v[28:29]
	ds_read_b128 v[28:31], v254 offset:25920
	ds_read_b128 v[40:43], v254 offset:27360
	v_fmac_f64_e32 v[178:179], v[84:85], v[36:37]
	v_fma_f64 v[54:55], v[84:85], v[38:39], -v[8:9]
	ds_read_b128 v[8:11], v254 offset:33120
	ds_read_b128 v[36:39], v254 offset:34560
	v_fma_f64 v[56:57], v[76:77], v[58:59], -v[56:57]
	v_fmac_f64_e32 v[182:183], v[12:13], v[48:49]
	v_fma_f64 v[58:59], v[12:13], v[50:51], -v[14:15]
	v_mul_f64 v[12:13], v[90:91], v[104:105]
	v_fma_f64 v[68:69], v[88:89], v[106:107], -v[12:13]
	v_mul_f64 v[12:13], v[110:111], v[152:153]
	;; [unrolled: 2-line block ×5, first 2 shown]
	v_mul_f64 v[12:13], v[114:115], v[160:161]
	s_waitcnt lgkmcnt(1)
	v_mul_f64 v[114:115], v[122:123], v[10:11]
	v_mul_f64 v[66:67], v[110:111], v[154:155]
	v_fmac_f64_e32 v[114:115], v[120:121], v[8:9]
	v_mul_f64 v[8:9], v[122:123], v[8:9]
	v_fmac_f64_e32 v[66:67], v[108:109], v[152:153]
	v_fma_f64 v[108:109], v[120:121], v[10:11], -v[8:9]
	v_mul_f64 v[8:9], v[130:131], v[164:165]
	v_fma_f64 v[84:85], v[128:129], v[166:167], -v[8:9]
	v_mul_f64 v[8:9], v[142:143], v[32:33]
	v_mul_f64 v[62:63], v[90:91], v[106:107]
	v_fma_f64 v[86:87], v[140:141], v[34:35], -v[8:9]
	v_mul_f64 v[8:9], v[134:135], v[40:41]
	v_fmac_f64_e32 v[62:63], v[88:89], v[104:105]
	v_fma_f64 v[88:89], v[132:133], v[42:43], -v[8:9]
	s_waitcnt lgkmcnt(0)
	v_mul_f64 v[8:9], v[138:139], v[36:37]
	v_mul_f64 v[76:77], v[98:99], v[146:147]
	v_fma_f64 v[90:91], v[136:137], v[38:39], -v[8:9]
	v_add_f64 v[8:9], v[0:1], v[44:45]
	v_fmac_f64_e32 v[76:77], v[96:97], v[144:145]
	v_mul_f64 v[144:145], v[102:103], v[150:151]
	v_fma_f64 v[102:103], v[112:113], v[162:163], -v[12:13]
	v_mul_f64 v[12:13], v[126:127], v[156:157]
	v_add_f64 v[8:9], v[8:9], v[168:169]
	v_accvgpr_read_b32 v184, a54
	v_fma_f64 v[104:105], v[124:125], v[158:159], -v[12:13]
	v_mul_f64 v[12:13], v[118:119], v[28:29]
	v_add_f64 v[8:9], v[8:9], v[172:173]
	v_mad_u64_u32 v[82:83], s[0:1], s6, v184, 0
	v_fma_f64 v[106:107], v[116:117], v[30:31], -v[12:13]
	v_add_f64 v[12:13], v[8:9], v[176:177]
	v_add_f64 v[8:9], v[168:169], v[172:173]
	s_mov_b32 s2, 0x134454ff
	v_fmac_f64_e32 v[78:79], v[112:113], v[160:161]
	v_mul_f64 v[112:113], v[118:119], v[30:31]
	v_mul_f64 v[96:97], v[142:143], v[34:35]
	v_fma_f64 v[8:9], -0.5, v[8:9], v[0:1]
	v_add_f64 v[10:11], v[60:61], -v[64:65]
	s_mov_b32 s3, 0xbfee6f0e
	s_mov_b32 s0, 0x4755a5e
	;; [unrolled: 1-line block ×4, first 2 shown]
	v_mov_b32_e32 v80, s12
	v_mov_b32_e32 v81, s13
	v_fmac_f64_e32 v[112:113], v[116:117], v[28:29]
	v_fmac_f64_e32 v[96:97], v[140:141], v[32:33]
	v_fma_f64 v[28:29], s[2:3], v[10:11], v[8:9]
	v_add_f64 v[14:15], v[170:171], -v[174:175]
	s_mov_b32 s1, 0xbfe2cf23
	v_add_f64 v[30:31], v[44:45], -v[168:169]
	v_add_f64 v[32:33], v[176:177], -v[172:173]
	s_mov_b32 s8, 0x372fe950
	v_fmac_f64_e32 v[8:9], s[10:11], v[10:11]
	s_mov_b32 s13, 0x3fe2cf23
	s_mov_b32 s12, s0
	v_fmac_f64_e32 v[28:29], s[0:1], v[14:15]
	v_add_f64 v[30:31], v[30:31], v[32:33]
	s_mov_b32 s9, 0x3fd3c6ef
	v_fmac_f64_e32 v[8:9], s[12:13], v[14:15]
	v_fmac_f64_e32 v[28:29], s[8:9], v[30:31]
	;; [unrolled: 1-line block ×3, first 2 shown]
	v_add_f64 v[30:31], v[44:45], v[176:177]
	v_fmac_f64_e32 v[0:1], -0.5, v[30:31]
	v_fma_f64 v[32:33], s[10:11], v[14:15], v[0:1]
	v_fmac_f64_e32 v[0:1], s[2:3], v[14:15]
	v_fmac_f64_e32 v[32:33], s[0:1], v[10:11]
	;; [unrolled: 1-line block ×3, first 2 shown]
	v_add_f64 v[10:11], v[2:3], v[60:61]
	v_add_f64 v[10:11], v[10:11], v[170:171]
	v_add_f64 v[10:11], v[10:11], v[174:175]
	v_fmac_f64_e32 v[144:145], v[100:101], v[148:149]
	v_mul_f64 v[100:101], v[138:139], v[38:39]
	v_add_f64 v[30:31], v[168:169], -v[44:45]
	v_add_f64 v[34:35], v[172:173], -v[176:177]
	v_add_f64 v[14:15], v[10:11], v[64:65]
	v_add_f64 v[10:11], v[170:171], v[174:175]
	v_mul_f64 v[98:99], v[134:135], v[42:43]
	v_fmac_f64_e32 v[100:101], v[136:137], v[36:37]
	v_add_f64 v[30:31], v[30:31], v[34:35]
	v_fma_f64 v[10:11], -0.5, v[10:11], v[2:3]
	v_add_f64 v[36:37], v[44:45], -v[176:177]
	v_fmac_f64_e32 v[98:99], v[132:133], v[40:41]
	v_fmac_f64_e32 v[32:33], s[8:9], v[30:31]
	;; [unrolled: 1-line block ×3, first 2 shown]
	v_fma_f64 v[30:31], s[10:11], v[36:37], v[10:11]
	v_add_f64 v[38:39], v[168:169], -v[172:173]
	v_add_f64 v[34:35], v[60:61], -v[170:171]
	;; [unrolled: 1-line block ×3, first 2 shown]
	v_fmac_f64_e32 v[10:11], s[2:3], v[36:37]
	v_fmac_f64_e32 v[30:31], s[12:13], v[38:39]
	v_add_f64 v[34:35], v[34:35], v[40:41]
	v_fmac_f64_e32 v[10:11], s[0:1], v[38:39]
	v_fmac_f64_e32 v[30:31], s[8:9], v[34:35]
	;; [unrolled: 1-line block ×3, first 2 shown]
	v_add_f64 v[34:35], v[60:61], v[64:65]
	v_fmac_f64_e32 v[2:3], -0.5, v[34:35]
	v_fma_f64 v[34:35], s[2:3], v[38:39], v[2:3]
	v_fmac_f64_e32 v[2:3], s[10:11], v[38:39]
	v_fmac_f64_e32 v[34:35], s[12:13], v[36:37]
	;; [unrolled: 1-line block ×3, first 2 shown]
	v_add_f64 v[36:37], v[4:5], v[46:47]
	v_add_f64 v[40:41], v[170:171], -v[60:61]
	v_add_f64 v[42:43], v[174:175], -v[64:65]
	v_add_f64 v[36:37], v[36:37], v[178:179]
	v_add_f64 v[40:41], v[40:41], v[42:43]
	;; [unrolled: 1-line block ×3, first 2 shown]
	v_fmac_f64_e32 v[34:35], s[8:9], v[40:41]
	v_fmac_f64_e32 v[2:3], s[8:9], v[40:41]
	v_add_f64 v[40:41], v[36:37], v[182:183]
	v_add_f64 v[36:37], v[178:179], v[180:181]
	v_fma_f64 v[36:37], -0.5, v[36:37], v[4:5]
	v_add_f64 v[38:39], v[52:53], -v[58:59]
	v_fma_f64 v[44:45], s[2:3], v[38:39], v[36:37]
	v_add_f64 v[42:43], v[54:55], -v[56:57]
	v_add_f64 v[48:49], v[46:47], -v[178:179]
	;; [unrolled: 1-line block ×3, first 2 shown]
	v_fmac_f64_e32 v[36:37], s[10:11], v[38:39]
	v_fmac_f64_e32 v[44:45], s[0:1], v[42:43]
	v_add_f64 v[48:49], v[48:49], v[50:51]
	v_fmac_f64_e32 v[36:37], s[12:13], v[42:43]
	v_fmac_f64_e32 v[44:45], s[8:9], v[48:49]
	;; [unrolled: 1-line block ×3, first 2 shown]
	v_add_f64 v[48:49], v[46:47], v[182:183]
	v_fmac_f64_e32 v[4:5], -0.5, v[48:49]
	v_fma_f64 v[48:49], s[10:11], v[42:43], v[4:5]
	v_fmac_f64_e32 v[4:5], s[2:3], v[42:43]
	v_fmac_f64_e32 v[48:49], s[0:1], v[38:39]
	;; [unrolled: 1-line block ×3, first 2 shown]
	v_add_f64 v[38:39], v[6:7], v[52:53]
	v_add_f64 v[38:39], v[38:39], v[54:55]
	;; [unrolled: 1-line block ×3, first 2 shown]
	v_add_f64 v[50:51], v[178:179], -v[46:47]
	v_add_f64 v[60:61], v[180:181], -v[182:183]
	v_add_f64 v[42:43], v[38:39], v[58:59]
	v_add_f64 v[38:39], v[54:55], v[56:57]
	;; [unrolled: 1-line block ×3, first 2 shown]
	v_fma_f64 v[38:39], -0.5, v[38:39], v[6:7]
	v_add_f64 v[60:61], v[46:47], -v[182:183]
	v_fmac_f64_e32 v[48:49], s[8:9], v[50:51]
	v_fmac_f64_e32 v[4:5], s[8:9], v[50:51]
	v_fma_f64 v[46:47], s[10:11], v[60:61], v[38:39]
	v_add_f64 v[64:65], v[178:179], -v[180:181]
	v_add_f64 v[50:51], v[52:53], -v[54:55]
	;; [unrolled: 1-line block ×3, first 2 shown]
	v_fmac_f64_e32 v[38:39], s[2:3], v[60:61]
	v_fmac_f64_e32 v[46:47], s[12:13], v[64:65]
	v_add_f64 v[50:51], v[50:51], v[116:117]
	v_fmac_f64_e32 v[38:39], s[0:1], v[64:65]
	v_fmac_f64_e32 v[46:47], s[8:9], v[50:51]
	v_fmac_f64_e32 v[38:39], s[8:9], v[50:51]
	v_add_f64 v[50:51], v[52:53], v[58:59]
	v_fmac_f64_e32 v[6:7], -0.5, v[50:51]
	v_fma_f64 v[50:51], s[2:3], v[64:65], v[6:7]
	v_add_f64 v[52:53], v[54:55], -v[52:53]
	v_add_f64 v[54:55], v[56:57], -v[58:59]
	v_fmac_f64_e32 v[6:7], s[10:11], v[64:65]
	v_fmac_f64_e32 v[50:51], s[12:13], v[60:61]
	v_add_f64 v[52:53], v[52:53], v[54:55]
	v_fmac_f64_e32 v[6:7], s[0:1], v[60:61]
	v_fmac_f64_e32 v[50:51], s[8:9], v[52:53]
	;; [unrolled: 1-line block ×3, first 2 shown]
	v_add_f64 v[52:53], v[20:21], v[62:63]
	v_add_f64 v[52:53], v[52:53], v[66:67]
	;; [unrolled: 1-line block ×5, first 2 shown]
	v_fma_f64 v[52:53], -0.5, v[52:53], v[20:21]
	v_add_f64 v[54:55], v[68:69], -v[74:75]
	v_fma_f64 v[60:61], s[2:3], v[54:55], v[52:53]
	v_add_f64 v[58:59], v[70:71], -v[72:73]
	v_add_f64 v[64:65], v[62:63], -v[66:67]
	;; [unrolled: 1-line block ×3, first 2 shown]
	v_fmac_f64_e32 v[52:53], s[10:11], v[54:55]
	v_fmac_f64_e32 v[60:61], s[0:1], v[58:59]
	v_add_f64 v[64:65], v[64:65], v[116:117]
	v_fmac_f64_e32 v[52:53], s[12:13], v[58:59]
	v_fmac_f64_e32 v[60:61], s[8:9], v[64:65]
	;; [unrolled: 1-line block ×3, first 2 shown]
	v_add_f64 v[64:65], v[62:63], v[144:145]
	v_fmac_f64_e32 v[20:21], -0.5, v[64:65]
	v_fma_f64 v[64:65], s[10:11], v[58:59], v[20:21]
	v_fmac_f64_e32 v[20:21], s[2:3], v[58:59]
	v_fmac_f64_e32 v[64:65], s[0:1], v[54:55]
	;; [unrolled: 1-line block ×3, first 2 shown]
	v_add_f64 v[54:55], v[22:23], v[68:69]
	v_add_f64 v[54:55], v[54:55], v[70:71]
	v_add_f64 v[116:117], v[66:67], -v[62:63]
	v_add_f64 v[118:119], v[76:77], -v[144:145]
	v_add_f64 v[54:55], v[54:55], v[72:73]
	v_add_f64 v[116:117], v[116:117], v[118:119]
	;; [unrolled: 1-line block ×4, first 2 shown]
	v_fmac_f64_e32 v[64:65], s[8:9], v[116:117]
	v_fmac_f64_e32 v[20:21], s[8:9], v[116:117]
	v_fma_f64 v[54:55], -0.5, v[54:55], v[22:23]
	v_add_f64 v[116:117], v[62:63], -v[144:145]
	v_fma_f64 v[62:63], s[10:11], v[116:117], v[54:55]
	v_add_f64 v[76:77], v[66:67], -v[76:77]
	v_add_f64 v[66:67], v[68:69], -v[70:71]
	;; [unrolled: 1-line block ×3, first 2 shown]
	v_fmac_f64_e32 v[54:55], s[2:3], v[116:117]
	v_fmac_f64_e32 v[62:63], s[12:13], v[76:77]
	v_add_f64 v[66:67], v[66:67], v[118:119]
	v_fmac_f64_e32 v[54:55], s[0:1], v[76:77]
	v_fmac_f64_e32 v[62:63], s[8:9], v[66:67]
	;; [unrolled: 1-line block ×3, first 2 shown]
	v_add_f64 v[66:67], v[68:69], v[74:75]
	v_fmac_f64_e32 v[22:23], -0.5, v[66:67]
	v_fma_f64 v[66:67], s[2:3], v[76:77], v[22:23]
	v_add_f64 v[68:69], v[70:71], -v[68:69]
	v_add_f64 v[70:71], v[72:73], -v[74:75]
	v_fmac_f64_e32 v[22:23], s[10:11], v[76:77]
	v_mul_f64 v[110:111], v[126:127], v[158:159]
	v_fmac_f64_e32 v[66:67], s[12:13], v[116:117]
	v_add_f64 v[68:69], v[68:69], v[70:71]
	v_fmac_f64_e32 v[22:23], s[0:1], v[116:117]
	v_fmac_f64_e32 v[110:111], v[124:125], v[156:157]
	;; [unrolled: 1-line block ×4, first 2 shown]
	v_add_f64 v[68:69], v[16:17], v[78:79]
	v_add_f64 v[68:69], v[68:69], v[110:111]
	;; [unrolled: 1-line block ×5, first 2 shown]
	v_fma_f64 v[68:69], -0.5, v[68:69], v[16:17]
	v_add_f64 v[70:71], v[102:103], -v[108:109]
	v_fma_f64 v[76:77], s[2:3], v[70:71], v[68:69]
	v_add_f64 v[74:75], v[104:105], -v[106:107]
	v_add_f64 v[116:117], v[78:79], -v[110:111]
	;; [unrolled: 1-line block ×3, first 2 shown]
	v_fmac_f64_e32 v[68:69], s[10:11], v[70:71]
	v_fmac_f64_e32 v[76:77], s[0:1], v[74:75]
	v_add_f64 v[116:117], v[116:117], v[118:119]
	v_fmac_f64_e32 v[68:69], s[12:13], v[74:75]
	v_fmac_f64_e32 v[76:77], s[8:9], v[116:117]
	;; [unrolled: 1-line block ×3, first 2 shown]
	v_add_f64 v[116:117], v[78:79], v[114:115]
	v_fmac_f64_e32 v[16:17], -0.5, v[116:117]
	v_fma_f64 v[116:117], s[10:11], v[74:75], v[16:17]
	v_fmac_f64_e32 v[16:17], s[2:3], v[74:75]
	v_fmac_f64_e32 v[116:117], s[0:1], v[70:71]
	;; [unrolled: 1-line block ×3, first 2 shown]
	v_add_f64 v[70:71], v[18:19], v[102:103]
	v_add_f64 v[70:71], v[70:71], v[104:105]
	;; [unrolled: 1-line block ×3, first 2 shown]
	v_add_f64 v[118:119], v[110:111], -v[78:79]
	v_add_f64 v[120:121], v[112:113], -v[114:115]
	v_add_f64 v[74:75], v[70:71], v[108:109]
	v_add_f64 v[70:71], v[104:105], v[106:107]
	;; [unrolled: 1-line block ×3, first 2 shown]
	v_fma_f64 v[70:71], -0.5, v[70:71], v[18:19]
	v_add_f64 v[114:115], v[78:79], -v[114:115]
	v_fmac_f64_e32 v[116:117], s[8:9], v[118:119]
	v_fmac_f64_e32 v[16:17], s[8:9], v[118:119]
	v_fma_f64 v[78:79], s[10:11], v[114:115], v[70:71]
	v_add_f64 v[110:111], v[110:111], -v[112:113]
	v_add_f64 v[112:113], v[102:103], -v[104:105]
	v_add_f64 v[118:119], v[108:109], -v[106:107]
	v_fmac_f64_e32 v[70:71], s[2:3], v[114:115]
	v_fmac_f64_e32 v[78:79], s[12:13], v[110:111]
	v_add_f64 v[112:113], v[112:113], v[118:119]
	v_fmac_f64_e32 v[70:71], s[0:1], v[110:111]
	v_fmac_f64_e32 v[78:79], s[8:9], v[112:113]
	;; [unrolled: 1-line block ×3, first 2 shown]
	v_add_f64 v[112:113], v[102:103], v[108:109]
	v_add_f64 v[102:103], v[104:105], -v[102:103]
	v_add_f64 v[104:105], v[106:107], -v[108:109]
	v_mul_f64 v[94:95], v[130:131], v[166:167]
	v_fmac_f64_e32 v[18:19], -0.5, v[112:113]
	v_add_f64 v[102:103], v[102:103], v[104:105]
	v_add_f64 v[104:105], v[96:97], v[98:99]
	v_fmac_f64_e32 v[94:95], v[128:129], v[164:165]
	v_fma_f64 v[118:119], s[2:3], v[110:111], v[18:19]
	v_fmac_f64_e32 v[18:19], s[10:11], v[110:111]
	v_fma_f64 v[106:107], -0.5, v[104:105], v[24:25]
	v_add_f64 v[104:105], v[84:85], -v[90:91]
	v_fmac_f64_e32 v[118:119], s[12:13], v[114:115]
	v_fmac_f64_e32 v[18:19], s[0:1], v[114:115]
	v_fma_f64 v[110:111], s[2:3], v[104:105], v[106:107]
	v_add_f64 v[108:109], v[86:87], -v[88:89]
	v_add_f64 v[112:113], v[94:95], -v[96:97]
	;; [unrolled: 1-line block ×3, first 2 shown]
	v_fmac_f64_e32 v[106:107], s[10:11], v[104:105]
	v_fmac_f64_e32 v[110:111], s[0:1], v[108:109]
	v_add_f64 v[112:113], v[112:113], v[114:115]
	v_fmac_f64_e32 v[106:107], s[12:13], v[108:109]
	v_fmac_f64_e32 v[110:111], s[8:9], v[112:113]
	;; [unrolled: 1-line block ×3, first 2 shown]
	v_add_f64 v[112:113], v[94:95], v[100:101]
	v_fmac_f64_e32 v[118:119], s[8:9], v[102:103]
	v_fmac_f64_e32 v[18:19], s[8:9], v[102:103]
	v_add_f64 v[102:103], v[24:25], v[94:95]
	v_fmac_f64_e32 v[24:25], -0.5, v[112:113]
	v_add_f64 v[102:103], v[102:103], v[96:97]
	v_fma_f64 v[120:121], s[10:11], v[108:109], v[24:25]
	v_add_f64 v[112:113], v[96:97], -v[94:95]
	v_add_f64 v[114:115], v[98:99], -v[100:101]
	v_fmac_f64_e32 v[24:25], s[2:3], v[108:109]
	v_add_f64 v[108:109], v[86:87], v[88:89]
	v_add_f64 v[102:103], v[102:103], v[98:99]
	v_fmac_f64_e32 v[120:121], s[0:1], v[104:105]
	v_add_f64 v[112:113], v[112:113], v[114:115]
	v_fmac_f64_e32 v[24:25], s[12:13], v[104:105]
	v_fma_f64 v[108:109], -0.5, v[108:109], v[26:27]
	v_add_f64 v[94:95], v[94:95], -v[100:101]
	v_add_f64 v[102:103], v[102:103], v[100:101]
	v_fmac_f64_e32 v[120:121], s[8:9], v[112:113]
	v_fmac_f64_e32 v[24:25], s[8:9], v[112:113]
	v_fma_f64 v[112:113], s[10:11], v[94:95], v[108:109]
	v_add_f64 v[96:97], v[96:97], -v[98:99]
	v_add_f64 v[98:99], v[84:85], -v[86:87]
	;; [unrolled: 1-line block ×3, first 2 shown]
	v_fmac_f64_e32 v[108:109], s[2:3], v[94:95]
	v_fmac_f64_e32 v[112:113], s[12:13], v[96:97]
	v_add_f64 v[98:99], v[98:99], v[100:101]
	v_fmac_f64_e32 v[108:109], s[0:1], v[96:97]
	v_fmac_f64_e32 v[112:113], s[8:9], v[98:99]
	;; [unrolled: 1-line block ×3, first 2 shown]
	v_add_f64 v[98:99], v[84:85], v[90:91]
	v_add_f64 v[104:105], v[26:27], v[84:85]
	v_fmac_f64_e32 v[26:27], -0.5, v[98:99]
	v_add_f64 v[104:105], v[104:105], v[86:87]
	v_fma_f64 v[122:123], s[2:3], v[96:97], v[26:27]
	v_add_f64 v[84:85], v[86:87], -v[84:85]
	v_add_f64 v[86:87], v[88:89], -v[90:91]
	v_fmac_f64_e32 v[26:27], s[10:11], v[96:97]
	v_add_f64 v[104:105], v[104:105], v[88:89]
	v_fmac_f64_e32 v[122:123], s[12:13], v[94:95]
	v_add_f64 v[84:85], v[84:85], v[86:87]
	;; [unrolled: 2-line block ×3, first 2 shown]
	v_fmac_f64_e32 v[122:123], s[8:9], v[84:85]
	v_fmac_f64_e32 v[26:27], s[8:9], v[84:85]
	ds_write_b128 v254, v[12:15]
	ds_write_b128 v254, v[28:31] offset:7200
	ds_write_b128 v254, v[32:35] offset:14400
	;; [unrolled: 1-line block ×24, first 2 shown]
	v_accvgpr_read_b32 v37, a23             ;  Reload Reuse
	v_accvgpr_read_b32 v36, a24             ;  Reload Reuse
	;; [unrolled: 1-line block ×3, first 2 shown]
	s_waitcnt lgkmcnt(0)
	s_barrier
	scratch_load_dword v34, off, off offset:288 ; 4-byte Folded Reload
	scratch_load_dwordx4 v[38:41], off, off offset:252 ; 16-byte Folded Reload
	scratch_load_dwordx4 v[42:45], off, off offset:236 ; 16-byte Folded Reload
	;; [unrolled: 1-line block ×4, first 2 shown]
	ds_read_b128 v[0:3], v254
	v_mov_b32_e32 v92, v83
	v_accvgpr_read_b32 v13, a5
	v_mad_u64_u32 v[4:5], s[0:1], s7, v184, v[92:93]
	v_accvgpr_read_b32 v12, a4
	v_mov_b32_e32 v83, v4
	ds_read_b128 v[4:7], v254 offset:33840
	v_accvgpr_read_b32 v11, a3
	v_accvgpr_read_b32 v10, a2
	s_waitcnt lgkmcnt(1)
	v_mul_f64 v[8:9], v[12:13], v[2:3]
	v_fmac_f64_e32 v[8:9], v[10:11], v[0:1]
	v_mul_f64 v[0:1], v[12:13], v[0:1]
	s_mov_b32 s0, 0x5a912e32
	v_fma_f64 v[0:1], v[10:11], v[2:3], -v[0:1]
	v_accvgpr_read_b32 v2, a0
	s_mov_b32 s1, 0x3f3d208a
	v_mad_u64_u32 v[12:13], s[2:3], s4, v2, 0
	v_mul_f64 v[10:11], v[0:1], s[0:1]
	v_mov_b32_e32 v0, v13
	v_mad_u64_u32 v[0:1], s[2:3], s5, v2, v[0:1]
	v_mov_b32_e32 v13, v0
	ds_read_b128 v[0:3], v254 offset:3600
	v_lshl_add_u64 v[14:15], v[82:83], 4, v[80:81]
	v_accvgpr_read_b32 v21, a9
	v_mul_f64 v[8:9], v[8:9], s[0:1]
	v_lshl_add_u64 v[16:17], v[12:13], 4, v[14:15]
	v_accvgpr_read_b32 v20, a8
	global_store_dwordx4 v[16:17], v[8:11], off
	ds_read_b128 v[8:11], v254 offset:1440
	v_accvgpr_read_b32 v19, a7
	v_accvgpr_read_b32 v18, a6
	s_waitcnt lgkmcnt(1)
	v_mul_f64 v[12:13], v[20:21], v[2:3]
	v_fmac_f64_e32 v[12:13], v[18:19], v[0:1]
	v_mul_f64 v[0:1], v[20:21], v[0:1]
	v_fma_f64 v[0:1], v[18:19], v[2:3], -v[0:1]
	v_mul_f64 v[14:15], v[0:1], s[0:1]
	ds_read_b128 v[0:3], v254 offset:7200
	s_mul_i32 s2, s5, 0xe1
	s_mul_hi_u32 s3, s4, 0xe1
	s_add_i32 s3, s3, s2
	s_mul_i32 s2, s4, 0xe1
	s_lshl_b64 s[2:3], s[2:3], 4
	v_accvgpr_read_b32 v25, a13
	v_mul_f64 v[12:13], v[12:13], s[0:1]
	v_lshl_add_u64 v[20:21], v[16:17], 0, s[2:3]
	v_accvgpr_read_b32 v24, a12
	global_store_dwordx4 v[20:21], v[12:15], off
	ds_read_b128 v[12:15], v254 offset:5040
	v_accvgpr_read_b32 v23, a11
	v_accvgpr_read_b32 v22, a10
	s_waitcnt lgkmcnt(1)
	v_mul_f64 v[16:17], v[24:25], v[2:3]
	v_fmac_f64_e32 v[16:17], v[22:23], v[0:1]
	v_mul_f64 v[0:1], v[24:25], v[0:1]
	v_fma_f64 v[18:19], v[22:23], v[2:3], -v[0:1]
	ds_read_b128 v[0:3], v254 offset:10800
	v_accvgpr_read_b32 v29, a17
	v_mul_f64 v[16:17], v[16:17], s[0:1]
	v_mul_f64 v[18:19], v[18:19], s[0:1]
	v_lshl_add_u64 v[24:25], v[20:21], 0, s[2:3]
	v_accvgpr_read_b32 v28, a16
	global_store_dwordx4 v[24:25], v[16:19], off
	ds_read_b128 v[16:19], v254 offset:8640
	v_accvgpr_read_b32 v27, a15
	v_accvgpr_read_b32 v26, a14
	s_waitcnt lgkmcnt(1)
	v_mul_f64 v[20:21], v[28:29], v[2:3]
	v_fmac_f64_e32 v[20:21], v[26:27], v[0:1]
	v_mul_f64 v[0:1], v[28:29], v[0:1]
	v_fma_f64 v[22:23], v[26:27], v[2:3], -v[0:1]
	ds_read_b128 v[0:3], v254 offset:14400
	v_accvgpr_read_b32 v33, a21
	v_mul_f64 v[20:21], v[20:21], s[0:1]
	v_mul_f64 v[22:23], v[22:23], s[0:1]
	v_lshl_add_u64 v[28:29], v[24:25], 0, s[2:3]
	v_accvgpr_read_b32 v32, a20
	global_store_dwordx4 v[28:29], v[20:23], off
	ds_read_b128 v[20:23], v254 offset:12240
	v_accvgpr_read_b32 v31, a19
	v_accvgpr_read_b32 v30, a18
	s_waitcnt lgkmcnt(1)
	v_mul_f64 v[24:25], v[32:33], v[2:3]
	v_fmac_f64_e32 v[24:25], v[30:31], v[0:1]
	v_mul_f64 v[0:1], v[32:33], v[0:1]
	v_fma_f64 v[26:27], v[30:31], v[2:3], -v[0:1]
	ds_read_b128 v[0:3], v254 offset:18000
	v_mul_f64 v[24:25], v[24:25], s[0:1]
	v_mul_f64 v[26:27], v[26:27], s[0:1]
	v_lshl_add_u64 v[32:33], v[28:29], 0, s[2:3]
	global_store_dwordx4 v[32:33], v[24:27], off
	ds_read_b128 v[24:27], v254 offset:15840
	s_waitcnt lgkmcnt(1)
	v_mul_f64 v[28:29], v[36:37], v[2:3]
	s_waitcnt vmcnt(9)
	v_fmac_f64_e32 v[28:29], v[34:35], v[0:1]
	v_mul_f64 v[0:1], v[36:37], v[0:1]
	v_fma_f64 v[30:31], v[34:35], v[2:3], -v[0:1]
	ds_read_b128 v[0:3], v254 offset:21600
	v_mul_f64 v[28:29], v[28:29], s[0:1]
	v_mul_f64 v[30:31], v[30:31], s[0:1]
	v_lshl_add_u64 v[36:37], v[32:33], 0, s[2:3]
	global_store_dwordx4 v[36:37], v[28:31], off
	ds_read_b128 v[28:31], v254 offset:19440
	s_waitcnt vmcnt(9) lgkmcnt(1)
	v_mul_f64 v[32:33], v[40:41], v[2:3]
	v_fmac_f64_e32 v[32:33], v[38:39], v[0:1]
	v_mul_f64 v[0:1], v[40:41], v[0:1]
	v_fma_f64 v[34:35], v[38:39], v[2:3], -v[0:1]
	ds_read_b128 v[0:3], v254 offset:25200
	v_mul_f64 v[32:33], v[32:33], s[0:1]
	v_mul_f64 v[34:35], v[34:35], s[0:1]
	v_lshl_add_u64 v[40:41], v[36:37], 0, s[2:3]
	global_store_dwordx4 v[40:41], v[32:35], off
	ds_read_b128 v[32:35], v254 offset:23040
	s_waitcnt vmcnt(9) lgkmcnt(1)
	v_mul_f64 v[36:37], v[44:45], v[2:3]
	;; [unrolled: 11-line block ×4, first 2 shown]
	v_fmac_f64_e32 v[44:45], v[50:51], v[0:1]
	v_mul_f64 v[0:1], v[52:53], v[0:1]
	v_fma_f64 v[0:1], v[50:51], v[2:3], -v[0:1]
	v_mul_f64 v[44:45], v[44:45], s[0:1]
	v_mul_f64 v[46:47], v[0:1], s[0:1]
	v_lshl_add_u64 v[48:49], v[48:49], 0, s[2:3]
	global_store_dwordx4 v[48:49], v[44:47], off
	scratch_load_dwordx4 v[44:47], off, off offset:188 ; 16-byte Folded Reload
	s_mul_hi_u32 s6, s4, 0xfffff871
	s_mulk_i32 s5, 0xf871
	s_sub_i32 s6, s6, s4
	s_add_i32 s5, s6, s5
	s_mulk_i32 s4, 0xf871
	s_waitcnt vmcnt(0)
	v_mul_f64 v[0:1], v[46:47], v[10:11]
	v_mul_f64 v[2:3], v[46:47], v[8:9]
	v_fmac_f64_e32 v[0:1], v[44:45], v[8:9]
	v_fma_f64 v[2:3], v[44:45], v[10:11], -v[2:3]
	scratch_load_dwordx4 v[44:47], off, off offset:172 ; 16-byte Folded Reload
	v_mul_f64 v[0:1], v[0:1], s[0:1]
	v_mul_f64 v[2:3], v[2:3], s[0:1]
	v_lshl_add_u64 v[8:9], s[4:5], 4, v[48:49]
	global_store_dwordx4 v[8:9], v[0:3], off
	v_lshl_add_u64 v[8:9], v[8:9], 0, s[2:3]
	s_waitcnt vmcnt(1)
	v_mul_f64 v[0:1], v[46:47], v[14:15]
	v_fmac_f64_e32 v[0:1], v[44:45], v[12:13]
	v_mul_f64 v[2:3], v[46:47], v[12:13]
	scratch_load_dwordx4 v[10:13], off, off offset:156 ; 16-byte Folded Reload
	v_fma_f64 v[2:3], v[44:45], v[14:15], -v[2:3]
	v_mul_f64 v[0:1], v[0:1], s[0:1]
	v_mul_f64 v[2:3], v[2:3], s[0:1]
	global_store_dwordx4 v[8:9], v[0:3], off
	v_lshl_add_u64 v[8:9], v[8:9], 0, s[2:3]
	s_waitcnt vmcnt(1)
	v_mul_f64 v[0:1], v[12:13], v[18:19]
	v_mul_f64 v[2:3], v[12:13], v[16:17]
	v_fmac_f64_e32 v[0:1], v[10:11], v[16:17]
	v_fma_f64 v[2:3], v[10:11], v[18:19], -v[2:3]
	scratch_load_dwordx4 v[10:13], off, off offset:140 ; 16-byte Folded Reload
	v_mul_f64 v[0:1], v[0:1], s[0:1]
	v_mul_f64 v[2:3], v[2:3], s[0:1]
	global_store_dwordx4 v[8:9], v[0:3], off
	v_lshl_add_u64 v[8:9], v[8:9], 0, s[2:3]
	s_waitcnt vmcnt(1)
	v_mul_f64 v[0:1], v[12:13], v[22:23]
	v_mul_f64 v[2:3], v[12:13], v[20:21]
	v_fmac_f64_e32 v[0:1], v[10:11], v[20:21]
	v_fma_f64 v[2:3], v[10:11], v[22:23], -v[2:3]
	scratch_load_dwordx4 v[10:13], off, off offset:124 ; 16-byte Folded Reload
	;; [unrolled: 10-line block ×6, first 2 shown]
	v_mul_f64 v[0:1], v[0:1], s[0:1]
	v_mul_f64 v[2:3], v[2:3], s[0:1]
	global_store_dwordx4 v[8:9], v[0:3], off
	v_lshl_add_u64 v[8:9], v[8:9], 0, s[2:3]
	s_waitcnt vmcnt(1) lgkmcnt(0)
	v_mul_f64 v[0:1], v[12:13], v[42:43]
	v_mul_f64 v[2:3], v[12:13], v[40:41]
	v_fmac_f64_e32 v[0:1], v[10:11], v[40:41]
	v_fma_f64 v[2:3], v[10:11], v[42:43], -v[2:3]
	scratch_load_dwordx4 v[10:13], off, off offset:44 ; 16-byte Folded Reload
	v_mul_f64 v[0:1], v[0:1], s[0:1]
	v_mul_f64 v[2:3], v[2:3], s[0:1]
	global_store_dwordx4 v[8:9], v[0:3], off
	s_waitcnt vmcnt(1)
	s_nop 0
	v_mul_f64 v[0:1], v[12:13], v[6:7]
	v_mul_f64 v[2:3], v[12:13], v[4:5]
	v_fmac_f64_e32 v[0:1], v[10:11], v[4:5]
	v_fma_f64 v[2:3], v[10:11], v[6:7], -v[2:3]
	v_mul_f64 v[0:1], v[0:1], s[0:1]
	v_mul_f64 v[2:3], v[2:3], s[0:1]
	v_lshl_add_u64 v[4:5], v[8:9], 0, s[2:3]
	global_store_dwordx4 v[4:5], v[0:3], off
	s_and_b64 exec, exec, vcc
	s_cbranch_execz .LBB0_31
; %bb.30:
	global_load_dwordx4 v[0:3], v[252:253], off offset:2880
	v_lshl_add_u64 v[8:9], s[4:5], 4, v[4:5]
	ds_read_b128 v[4:7], v254 offset:2880
	ds_read_b128 v[10:13], v254 offset:35280
	s_movk_i32 s4, 0x1000
	v_add_co_u32_e32 v14, vcc, s4, v252
	s_movk_i32 s4, 0x2000
	s_nop 0
	v_addc_co_u32_e32 v15, vcc, 0, v253, vcc
	v_add_co_u32_e32 v18, vcc, s4, v252
	s_movk_i32 s4, 0x3000
	s_nop 0
	v_addc_co_u32_e32 v19, vcc, 0, v253, vcc
	s_waitcnt vmcnt(0) lgkmcnt(1)
	v_mul_f64 v[16:17], v[6:7], v[2:3]
	v_mul_f64 v[2:3], v[4:5], v[2:3]
	v_fmac_f64_e32 v[16:17], v[4:5], v[0:1]
	v_fma_f64 v[2:3], v[0:1], v[6:7], -v[2:3]
	v_mul_f64 v[0:1], v[16:17], s[0:1]
	v_mul_f64 v[2:3], v[2:3], s[0:1]
	global_store_dwordx4 v[8:9], v[0:3], off
	global_load_dwordx4 v[0:3], v[14:15], off offset:2384
	ds_read_b128 v[4:7], v254 offset:6480
	ds_read_b128 v[14:17], v254 offset:10080
	v_lshl_add_u64 v[8:9], v[8:9], 0, s[2:3]
	s_waitcnt vmcnt(0) lgkmcnt(1)
	v_mul_f64 v[20:21], v[6:7], v[2:3]
	v_mul_f64 v[2:3], v[4:5], v[2:3]
	v_fmac_f64_e32 v[20:21], v[4:5], v[0:1]
	v_fma_f64 v[2:3], v[0:1], v[6:7], -v[2:3]
	v_mul_f64 v[0:1], v[20:21], s[0:1]
	v_mul_f64 v[2:3], v[2:3], s[0:1]
	global_store_dwordx4 v[8:9], v[0:3], off
	global_load_dwordx4 v[0:3], v[18:19], off offset:1888
	v_add_co_u32_e32 v4, vcc, s4, v252
	v_lshl_add_u64 v[8:9], v[8:9], 0, s[2:3]
	s_nop 0
	v_addc_co_u32_e32 v5, vcc, 0, v253, vcc
	s_movk_i32 s4, 0x4000
	v_add_co_u32_e32 v18, vcc, s4, v252
	s_movk_i32 s4, 0x5000
	s_nop 0
	v_addc_co_u32_e32 v19, vcc, 0, v253, vcc
	s_waitcnt vmcnt(0) lgkmcnt(0)
	v_mul_f64 v[6:7], v[16:17], v[2:3]
	v_mul_f64 v[2:3], v[14:15], v[2:3]
	v_fmac_f64_e32 v[6:7], v[14:15], v[0:1]
	v_fma_f64 v[2:3], v[0:1], v[16:17], -v[2:3]
	v_mul_f64 v[0:1], v[6:7], s[0:1]
	v_mul_f64 v[2:3], v[2:3], s[0:1]
	global_store_dwordx4 v[8:9], v[0:3], off
	global_load_dwordx4 v[0:3], v[4:5], off offset:1392
	ds_read_b128 v[4:7], v254 offset:13680
	ds_read_b128 v[14:17], v254 offset:17280
	v_lshl_add_u64 v[8:9], v[8:9], 0, s[2:3]
	s_waitcnt vmcnt(0) lgkmcnt(1)
	v_mul_f64 v[20:21], v[6:7], v[2:3]
	v_mul_f64 v[2:3], v[4:5], v[2:3]
	v_fmac_f64_e32 v[20:21], v[4:5], v[0:1]
	v_fma_f64 v[2:3], v[0:1], v[6:7], -v[2:3]
	v_mul_f64 v[0:1], v[20:21], s[0:1]
	v_mul_f64 v[2:3], v[2:3], s[0:1]
	global_store_dwordx4 v[8:9], v[0:3], off
	global_load_dwordx4 v[0:3], v[18:19], off offset:896
	v_add_co_u32_e32 v18, vcc, s4, v252
	v_lshl_add_u64 v[8:9], v[8:9], 0, s[2:3]
	s_nop 0
	v_addc_co_u32_e32 v19, vcc, 0, v253, vcc
	s_movk_i32 s4, 0x6000
	s_waitcnt vmcnt(0) lgkmcnt(0)
	v_mul_f64 v[4:5], v[16:17], v[2:3]
	v_mul_f64 v[2:3], v[14:15], v[2:3]
	v_fmac_f64_e32 v[4:5], v[14:15], v[0:1]
	v_fma_f64 v[2:3], v[0:1], v[16:17], -v[2:3]
	v_mul_f64 v[0:1], v[4:5], s[0:1]
	v_mul_f64 v[2:3], v[2:3], s[0:1]
	global_store_dwordx4 v[8:9], v[0:3], off
	global_load_dwordx4 v[0:3], v[18:19], off offset:400
	ds_read_b128 v[4:7], v254 offset:20880
	ds_read_b128 v[14:17], v254 offset:24480
	v_lshl_add_u64 v[8:9], v[8:9], 0, s[2:3]
	s_waitcnt vmcnt(0) lgkmcnt(1)
	v_mul_f64 v[20:21], v[6:7], v[2:3]
	v_mul_f64 v[2:3], v[4:5], v[2:3]
	v_fmac_f64_e32 v[20:21], v[4:5], v[0:1]
	v_fma_f64 v[2:3], v[0:1], v[6:7], -v[2:3]
	v_mul_f64 v[0:1], v[20:21], s[0:1]
	v_mul_f64 v[2:3], v[2:3], s[0:1]
	global_store_dwordx4 v[8:9], v[0:3], off
	global_load_dwordx4 v[0:3], v[18:19], off offset:4000
	v_add_co_u32_e32 v4, vcc, s4, v252
	v_lshl_add_u64 v[8:9], v[8:9], 0, s[2:3]
	s_nop 0
	v_addc_co_u32_e32 v5, vcc, 0, v253, vcc
	s_movk_i32 s4, 0x7000
	v_add_co_u32_e32 v18, vcc, s4, v252
	s_mov_b32 s4, 0x8000
	s_nop 0
	v_addc_co_u32_e32 v19, vcc, 0, v253, vcc
	s_waitcnt vmcnt(0) lgkmcnt(0)
	v_mul_f64 v[6:7], v[16:17], v[2:3]
	v_mul_f64 v[2:3], v[14:15], v[2:3]
	v_fmac_f64_e32 v[6:7], v[14:15], v[0:1]
	v_fma_f64 v[2:3], v[0:1], v[16:17], -v[2:3]
	v_mul_f64 v[0:1], v[6:7], s[0:1]
	v_mul_f64 v[2:3], v[2:3], s[0:1]
	global_store_dwordx4 v[8:9], v[0:3], off
	global_load_dwordx4 v[0:3], v[4:5], off offset:3504
	ds_read_b128 v[4:7], v254 offset:28080
	ds_read_b128 v[14:17], v254 offset:31680
	v_lshl_add_u64 v[8:9], v[8:9], 0, s[2:3]
	s_waitcnt vmcnt(0) lgkmcnt(1)
	v_mul_f64 v[20:21], v[6:7], v[2:3]
	v_mul_f64 v[2:3], v[4:5], v[2:3]
	v_fmac_f64_e32 v[20:21], v[4:5], v[0:1]
	v_fma_f64 v[2:3], v[0:1], v[6:7], -v[2:3]
	v_mul_f64 v[0:1], v[20:21], s[0:1]
	v_mul_f64 v[2:3], v[2:3], s[0:1]
	global_store_dwordx4 v[8:9], v[0:3], off
	global_load_dwordx4 v[0:3], v[18:19], off offset:3008
	v_lshl_add_u64 v[6:7], v[8:9], 0, s[2:3]
	v_add_co_u32_e32 v4, vcc, s4, v252
	s_waitcnt vmcnt(0) lgkmcnt(0)
	v_mul_f64 v[8:9], v[16:17], v[2:3]
	v_mul_f64 v[2:3], v[14:15], v[2:3]
	v_fmac_f64_e32 v[8:9], v[14:15], v[0:1]
	v_fma_f64 v[2:3], v[0:1], v[16:17], -v[2:3]
	v_mul_f64 v[0:1], v[8:9], s[0:1]
	v_mul_f64 v[2:3], v[2:3], s[0:1]
	v_addc_co_u32_e32 v5, vcc, 0, v253, vcc
	global_store_dwordx4 v[6:7], v[0:3], off
	global_load_dwordx4 v[0:3], v[4:5], off offset:2512
	s_waitcnt vmcnt(0)
	v_mul_f64 v[4:5], v[12:13], v[2:3]
	v_mul_f64 v[2:3], v[10:11], v[2:3]
	v_fmac_f64_e32 v[4:5], v[10:11], v[0:1]
	v_fma_f64 v[2:3], v[0:1], v[12:13], -v[2:3]
	v_mul_f64 v[0:1], v[4:5], s[0:1]
	v_mul_f64 v[2:3], v[2:3], s[0:1]
	v_lshl_add_u64 v[4:5], v[6:7], 0, s[2:3]
	global_store_dwordx4 v[4:5], v[0:3], off
.LBB0_31:
	s_endpgm
	.section	.rodata,"a",@progbits
	.p2align	6, 0x0
	.amdhsa_kernel bluestein_single_fwd_len2250_dim1_dp_op_CI_CI
		.amdhsa_group_segment_fixed_size 36000
		.amdhsa_private_segment_fixed_size 312
		.amdhsa_kernarg_size 104
		.amdhsa_user_sgpr_count 2
		.amdhsa_user_sgpr_dispatch_ptr 0
		.amdhsa_user_sgpr_queue_ptr 0
		.amdhsa_user_sgpr_kernarg_segment_ptr 1
		.amdhsa_user_sgpr_dispatch_id 0
		.amdhsa_user_sgpr_kernarg_preload_length 0
		.amdhsa_user_sgpr_kernarg_preload_offset 0
		.amdhsa_user_sgpr_private_segment_size 0
		.amdhsa_uses_dynamic_stack 0
		.amdhsa_enable_private_segment 1
		.amdhsa_system_sgpr_workgroup_id_x 1
		.amdhsa_system_sgpr_workgroup_id_y 0
		.amdhsa_system_sgpr_workgroup_id_z 0
		.amdhsa_system_sgpr_workgroup_info 0
		.amdhsa_system_vgpr_workitem_id 0
		.amdhsa_next_free_vgpr 512
		.amdhsa_next_free_sgpr 24
		.amdhsa_accum_offset 256
		.amdhsa_reserve_vcc 1
		.amdhsa_float_round_mode_32 0
		.amdhsa_float_round_mode_16_64 0
		.amdhsa_float_denorm_mode_32 3
		.amdhsa_float_denorm_mode_16_64 3
		.amdhsa_dx10_clamp 1
		.amdhsa_ieee_mode 1
		.amdhsa_fp16_overflow 0
		.amdhsa_tg_split 0
		.amdhsa_exception_fp_ieee_invalid_op 0
		.amdhsa_exception_fp_denorm_src 0
		.amdhsa_exception_fp_ieee_div_zero 0
		.amdhsa_exception_fp_ieee_overflow 0
		.amdhsa_exception_fp_ieee_underflow 0
		.amdhsa_exception_fp_ieee_inexact 0
		.amdhsa_exception_int_div_zero 0
	.end_amdhsa_kernel
	.text
.Lfunc_end0:
	.size	bluestein_single_fwd_len2250_dim1_dp_op_CI_CI, .Lfunc_end0-bluestein_single_fwd_len2250_dim1_dp_op_CI_CI
                                        ; -- End function
	.section	.AMDGPU.csdata,"",@progbits
; Kernel info:
; codeLenInByte = 40056
; NumSgprs: 30
; NumVgprs: 256
; NumAgprs: 256
; TotalNumVgprs: 512
; ScratchSize: 312
; MemoryBound: 0
; FloatMode: 240
; IeeeMode: 1
; LDSByteSize: 36000 bytes/workgroup (compile time only)
; SGPRBlocks: 3
; VGPRBlocks: 63
; NumSGPRsForWavesPerEU: 30
; NumVGPRsForWavesPerEU: 512
; AccumOffset: 256
; Occupancy: 1
; WaveLimiterHint : 1
; COMPUTE_PGM_RSRC2:SCRATCH_EN: 1
; COMPUTE_PGM_RSRC2:USER_SGPR: 2
; COMPUTE_PGM_RSRC2:TRAP_HANDLER: 0
; COMPUTE_PGM_RSRC2:TGID_X_EN: 1
; COMPUTE_PGM_RSRC2:TGID_Y_EN: 0
; COMPUTE_PGM_RSRC2:TGID_Z_EN: 0
; COMPUTE_PGM_RSRC2:TIDIG_COMP_CNT: 0
; COMPUTE_PGM_RSRC3_GFX90A:ACCUM_OFFSET: 63
; COMPUTE_PGM_RSRC3_GFX90A:TG_SPLIT: 0
	.text
	.p2alignl 6, 3212836864
	.fill 256, 4, 3212836864
	.type	__hip_cuid_f4a2fc725c75c55b,@object ; @__hip_cuid_f4a2fc725c75c55b
	.section	.bss,"aw",@nobits
	.globl	__hip_cuid_f4a2fc725c75c55b
__hip_cuid_f4a2fc725c75c55b:
	.byte	0                               ; 0x0
	.size	__hip_cuid_f4a2fc725c75c55b, 1

	.ident	"AMD clang version 19.0.0git (https://github.com/RadeonOpenCompute/llvm-project roc-6.4.0 25133 c7fe45cf4b819c5991fe208aaa96edf142730f1d)"
	.section	".note.GNU-stack","",@progbits
	.addrsig
	.addrsig_sym __hip_cuid_f4a2fc725c75c55b
	.amdgpu_metadata
---
amdhsa.kernels:
  - .agpr_count:     256
    .args:
      - .actual_access:  read_only
        .address_space:  global
        .offset:         0
        .size:           8
        .value_kind:     global_buffer
      - .actual_access:  read_only
        .address_space:  global
        .offset:         8
        .size:           8
        .value_kind:     global_buffer
      - .actual_access:  read_only
        .address_space:  global
        .offset:         16
        .size:           8
        .value_kind:     global_buffer
      - .actual_access:  read_only
        .address_space:  global
        .offset:         24
        .size:           8
        .value_kind:     global_buffer
      - .actual_access:  read_only
        .address_space:  global
        .offset:         32
        .size:           8
        .value_kind:     global_buffer
      - .offset:         40
        .size:           8
        .value_kind:     by_value
      - .address_space:  global
        .offset:         48
        .size:           8
        .value_kind:     global_buffer
      - .address_space:  global
        .offset:         56
        .size:           8
        .value_kind:     global_buffer
      - .address_space:  global
        .offset:         64
        .size:           8
        .value_kind:     global_buffer
      - .address_space:  global
        .offset:         72
        .size:           8
        .value_kind:     global_buffer
      - .offset:         80
        .size:           4
        .value_kind:     by_value
      - .address_space:  global
        .offset:         88
        .size:           8
        .value_kind:     global_buffer
      - .address_space:  global
        .offset:         96
        .size:           8
        .value_kind:     global_buffer
    .group_segment_fixed_size: 36000
    .kernarg_segment_align: 8
    .kernarg_segment_size: 104
    .language:       OpenCL C
    .language_version:
      - 2
      - 0
    .max_flat_workgroup_size: 90
    .name:           bluestein_single_fwd_len2250_dim1_dp_op_CI_CI
    .private_segment_fixed_size: 312
    .sgpr_count:     30
    .sgpr_spill_count: 0
    .symbol:         bluestein_single_fwd_len2250_dim1_dp_op_CI_CI.kd
    .uniform_work_group_size: 1
    .uses_dynamic_stack: false
    .vgpr_count:     512
    .vgpr_spill_count: 77
    .wavefront_size: 64
amdhsa.target:   amdgcn-amd-amdhsa--gfx950
amdhsa.version:
  - 1
  - 2
...

	.end_amdgpu_metadata
